;; amdgpu-corpus repo=ROCm/rocFFT kind=compiled arch=gfx906 opt=O3
	.text
	.amdgcn_target "amdgcn-amd-amdhsa--gfx906"
	.amdhsa_code_object_version 6
	.protected	fft_rtc_fwd_len1870_factors_17_10_11_wgs_187_tpt_187_halfLds_half_op_CI_CI_unitstride_sbrr_C2R_dirReg ; -- Begin function fft_rtc_fwd_len1870_factors_17_10_11_wgs_187_tpt_187_halfLds_half_op_CI_CI_unitstride_sbrr_C2R_dirReg
	.globl	fft_rtc_fwd_len1870_factors_17_10_11_wgs_187_tpt_187_halfLds_half_op_CI_CI_unitstride_sbrr_C2R_dirReg
	.p2align	8
	.type	fft_rtc_fwd_len1870_factors_17_10_11_wgs_187_tpt_187_halfLds_half_op_CI_CI_unitstride_sbrr_C2R_dirReg,@function
fft_rtc_fwd_len1870_factors_17_10_11_wgs_187_tpt_187_halfLds_half_op_CI_CI_unitstride_sbrr_C2R_dirReg: ; @fft_rtc_fwd_len1870_factors_17_10_11_wgs_187_tpt_187_halfLds_half_op_CI_CI_unitstride_sbrr_C2R_dirReg
; %bb.0:
	s_load_dwordx4 s[8:11], s[4:5], 0x58
	s_load_dwordx4 s[12:15], s[4:5], 0x0
	;; [unrolled: 1-line block ×3, first 2 shown]
	v_mul_u32_u24_e32 v1, 0x15f, v0
	v_mov_b32_e32 v8, 0
	v_mov_b32_e32 v6, 0
	s_waitcnt lgkmcnt(0)
	v_cmp_lt_u64_e64 s[0:1], s[14:15], 2
	v_add_u32_sdwa v10, s6, v1 dst_sel:DWORD dst_unused:UNUSED_PAD src0_sel:DWORD src1_sel:WORD_1
	v_mov_b32_e32 v11, v8
	s_and_b64 vcc, exec, s[0:1]
	v_mov_b32_e32 v7, 0
	s_cbranch_vccnz .LBB0_8
; %bb.1:
	s_load_dwordx2 s[0:1], s[4:5], 0x10
	s_add_u32 s2, s18, 8
	s_addc_u32 s3, s19, 0
	s_add_u32 s6, s16, 8
	s_addc_u32 s7, s17, 0
	v_mov_b32_e32 v6, 0
	s_waitcnt lgkmcnt(0)
	s_add_u32 s20, s0, 8
	v_mov_b32_e32 v7, 0
	v_mov_b32_e32 v1, v6
	s_addc_u32 s21, s1, 0
	s_mov_b64 s[22:23], 1
	v_mov_b32_e32 v2, v7
.LBB0_2:                                ; =>This Inner Loop Header: Depth=1
	s_load_dwordx2 s[24:25], s[20:21], 0x0
                                        ; implicit-def: $vgpr3_vgpr4
	s_waitcnt lgkmcnt(0)
	v_or_b32_e32 v9, s25, v11
	v_cmp_ne_u64_e32 vcc, 0, v[8:9]
	s_and_saveexec_b64 s[0:1], vcc
	s_xor_b64 s[26:27], exec, s[0:1]
	s_cbranch_execz .LBB0_4
; %bb.3:                                ;   in Loop: Header=BB0_2 Depth=1
	v_cvt_f32_u32_e32 v3, s24
	v_cvt_f32_u32_e32 v4, s25
	s_sub_u32 s0, 0, s24
	s_subb_u32 s1, 0, s25
	v_mac_f32_e32 v3, 0x4f800000, v4
	v_rcp_f32_e32 v3, v3
	v_mul_f32_e32 v3, 0x5f7ffffc, v3
	v_mul_f32_e32 v4, 0x2f800000, v3
	v_trunc_f32_e32 v4, v4
	v_mac_f32_e32 v3, 0xcf800000, v4
	v_cvt_u32_f32_e32 v4, v4
	v_cvt_u32_f32_e32 v3, v3
	v_mul_lo_u32 v5, s0, v4
	v_mul_hi_u32 v9, s0, v3
	v_mul_lo_u32 v13, s1, v3
	v_mul_lo_u32 v12, s0, v3
	v_add_u32_e32 v5, v9, v5
	v_add_u32_e32 v5, v5, v13
	v_mul_hi_u32 v9, v3, v12
	v_mul_lo_u32 v13, v3, v5
	v_mul_hi_u32 v15, v3, v5
	v_mul_hi_u32 v14, v4, v12
	v_mul_lo_u32 v12, v4, v12
	v_mul_hi_u32 v16, v4, v5
	v_add_co_u32_e32 v9, vcc, v9, v13
	v_addc_co_u32_e32 v13, vcc, 0, v15, vcc
	v_mul_lo_u32 v5, v4, v5
	v_add_co_u32_e32 v9, vcc, v9, v12
	v_addc_co_u32_e32 v9, vcc, v13, v14, vcc
	v_addc_co_u32_e32 v12, vcc, 0, v16, vcc
	v_add_co_u32_e32 v5, vcc, v9, v5
	v_addc_co_u32_e32 v9, vcc, 0, v12, vcc
	v_add_co_u32_e32 v3, vcc, v3, v5
	v_addc_co_u32_e32 v4, vcc, v4, v9, vcc
	v_mul_lo_u32 v5, s0, v4
	v_mul_hi_u32 v9, s0, v3
	v_mul_lo_u32 v12, s1, v3
	v_mul_lo_u32 v13, s0, v3
	v_add_u32_e32 v5, v9, v5
	v_add_u32_e32 v5, v5, v12
	v_mul_lo_u32 v14, v3, v5
	v_mul_hi_u32 v15, v3, v13
	v_mul_hi_u32 v16, v3, v5
	v_mul_hi_u32 v12, v4, v13
	v_mul_lo_u32 v13, v4, v13
	v_mul_hi_u32 v9, v4, v5
	v_add_co_u32_e32 v14, vcc, v15, v14
	v_addc_co_u32_e32 v15, vcc, 0, v16, vcc
	v_mul_lo_u32 v5, v4, v5
	v_add_co_u32_e32 v13, vcc, v14, v13
	v_addc_co_u32_e32 v12, vcc, v15, v12, vcc
	v_addc_co_u32_e32 v9, vcc, 0, v9, vcc
	v_add_co_u32_e32 v5, vcc, v12, v5
	v_addc_co_u32_e32 v9, vcc, 0, v9, vcc
	v_add_co_u32_e32 v5, vcc, v3, v5
	v_addc_co_u32_e32 v9, vcc, v4, v9, vcc
	v_mad_u64_u32 v[3:4], s[0:1], v10, v9, 0
	v_mul_hi_u32 v12, v10, v5
	v_add_co_u32_e32 v14, vcc, v12, v3
	v_addc_co_u32_e32 v15, vcc, 0, v4, vcc
	v_mad_u64_u32 v[3:4], s[0:1], v11, v5, 0
	v_mad_u64_u32 v[12:13], s[0:1], v11, v9, 0
	v_add_co_u32_e32 v3, vcc, v14, v3
	v_addc_co_u32_e32 v3, vcc, v15, v4, vcc
	v_addc_co_u32_e32 v4, vcc, 0, v13, vcc
	v_add_co_u32_e32 v5, vcc, v3, v12
	v_addc_co_u32_e32 v9, vcc, 0, v4, vcc
	v_mul_lo_u32 v12, s25, v5
	v_mul_lo_u32 v13, s24, v9
	v_mad_u64_u32 v[3:4], s[0:1], s24, v5, 0
	v_add3_u32 v4, v4, v13, v12
	v_sub_u32_e32 v12, v11, v4
	v_mov_b32_e32 v13, s25
	v_sub_co_u32_e32 v3, vcc, v10, v3
	v_subb_co_u32_e64 v12, s[0:1], v12, v13, vcc
	v_subrev_co_u32_e64 v13, s[0:1], s24, v3
	v_subbrev_co_u32_e64 v12, s[0:1], 0, v12, s[0:1]
	v_cmp_le_u32_e64 s[0:1], s25, v12
	v_cndmask_b32_e64 v14, 0, -1, s[0:1]
	v_cmp_le_u32_e64 s[0:1], s24, v13
	v_cndmask_b32_e64 v13, 0, -1, s[0:1]
	v_cmp_eq_u32_e64 s[0:1], s25, v12
	v_cndmask_b32_e64 v12, v14, v13, s[0:1]
	v_add_co_u32_e64 v13, s[0:1], 2, v5
	v_addc_co_u32_e64 v14, s[0:1], 0, v9, s[0:1]
	v_add_co_u32_e64 v15, s[0:1], 1, v5
	v_addc_co_u32_e64 v16, s[0:1], 0, v9, s[0:1]
	v_subb_co_u32_e32 v4, vcc, v11, v4, vcc
	v_cmp_ne_u32_e64 s[0:1], 0, v12
	v_cmp_le_u32_e32 vcc, s25, v4
	v_cndmask_b32_e64 v12, v16, v14, s[0:1]
	v_cndmask_b32_e64 v14, 0, -1, vcc
	v_cmp_le_u32_e32 vcc, s24, v3
	v_cndmask_b32_e64 v3, 0, -1, vcc
	v_cmp_eq_u32_e32 vcc, s25, v4
	v_cndmask_b32_e32 v3, v14, v3, vcc
	v_cmp_ne_u32_e32 vcc, 0, v3
	v_cndmask_b32_e64 v3, v15, v13, s[0:1]
	v_cndmask_b32_e32 v4, v9, v12, vcc
	v_cndmask_b32_e32 v3, v5, v3, vcc
.LBB0_4:                                ;   in Loop: Header=BB0_2 Depth=1
	s_andn2_saveexec_b64 s[0:1], s[26:27]
	s_cbranch_execz .LBB0_6
; %bb.5:                                ;   in Loop: Header=BB0_2 Depth=1
	v_cvt_f32_u32_e32 v3, s24
	s_sub_i32 s26, 0, s24
	v_rcp_iflag_f32_e32 v3, v3
	v_mul_f32_e32 v3, 0x4f7ffffe, v3
	v_cvt_u32_f32_e32 v3, v3
	v_mul_lo_u32 v4, s26, v3
	v_mul_hi_u32 v4, v3, v4
	v_add_u32_e32 v3, v3, v4
	v_mul_hi_u32 v3, v10, v3
	v_mul_lo_u32 v4, v3, s24
	v_add_u32_e32 v5, 1, v3
	v_sub_u32_e32 v4, v10, v4
	v_subrev_u32_e32 v9, s24, v4
	v_cmp_le_u32_e32 vcc, s24, v4
	v_cndmask_b32_e32 v4, v4, v9, vcc
	v_cndmask_b32_e32 v3, v3, v5, vcc
	v_add_u32_e32 v5, 1, v3
	v_cmp_le_u32_e32 vcc, s24, v4
	v_cndmask_b32_e32 v3, v3, v5, vcc
	v_mov_b32_e32 v4, v8
.LBB0_6:                                ;   in Loop: Header=BB0_2 Depth=1
	s_or_b64 exec, exec, s[0:1]
	v_mul_lo_u32 v5, v4, s24
	v_mul_lo_u32 v9, v3, s25
	v_mad_u64_u32 v[12:13], s[0:1], v3, s24, 0
	s_load_dwordx2 s[0:1], s[6:7], 0x0
	s_load_dwordx2 s[24:25], s[2:3], 0x0
	v_add3_u32 v5, v13, v9, v5
	v_sub_co_u32_e32 v9, vcc, v10, v12
	v_subb_co_u32_e32 v5, vcc, v11, v5, vcc
	s_waitcnt lgkmcnt(0)
	v_mul_lo_u32 v10, s0, v5
	v_mul_lo_u32 v11, s1, v9
	v_mad_u64_u32 v[6:7], s[0:1], s0, v9, v[6:7]
	s_add_u32 s22, s22, 1
	s_addc_u32 s23, s23, 0
	s_add_u32 s2, s2, 8
	v_mul_lo_u32 v5, s24, v5
	v_mul_lo_u32 v12, s25, v9
	v_mad_u64_u32 v[1:2], s[0:1], s24, v9, v[1:2]
	v_add3_u32 v7, v11, v7, v10
	s_addc_u32 s3, s3, 0
	v_mov_b32_e32 v9, s14
	s_add_u32 s6, s6, 8
	v_mov_b32_e32 v10, s15
	s_addc_u32 s7, s7, 0
	v_cmp_ge_u64_e32 vcc, s[22:23], v[9:10]
	s_add_u32 s20, s20, 8
	v_add3_u32 v2, v12, v2, v5
	s_addc_u32 s21, s21, 0
	s_cbranch_vccnz .LBB0_9
; %bb.7:                                ;   in Loop: Header=BB0_2 Depth=1
	v_mov_b32_e32 v11, v4
	v_mov_b32_e32 v10, v3
	s_branch .LBB0_2
.LBB0_8:
	v_mov_b32_e32 v1, v6
	v_mov_b32_e32 v3, v10
	;; [unrolled: 1-line block ×4, first 2 shown]
.LBB0_9:
	s_load_dwordx2 s[4:5], s[4:5], 0x28
	s_lshl_b64 s[6:7], s[14:15], 3
	s_add_u32 s2, s18, s6
	s_addc_u32 s3, s19, s7
                                        ; implicit-def: $vgpr5
	s_waitcnt lgkmcnt(0)
	v_cmp_gt_u64_e64 s[0:1], s[4:5], v[3:4]
	v_cmp_le_u64_e32 vcc, s[4:5], v[3:4]
	s_and_saveexec_b64 s[4:5], vcc
	s_xor_b64 s[4:5], exec, s[4:5]
; %bb.10:
	s_mov_b32 s14, 0x15e75bc
	v_mul_hi_u32 v5, v0, s14
                                        ; implicit-def: $vgpr6_vgpr7
	v_mul_u32_u24_e32 v5, 0xbb, v5
	v_sub_u32_e32 v5, v0, v5
                                        ; implicit-def: $vgpr0
; %bb.11:
	s_or_saveexec_b64 s[4:5], s[4:5]
	s_load_dwordx2 s[2:3], s[2:3], 0x0
	s_xor_b64 exec, exec, s[4:5]
	s_cbranch_execz .LBB0_15
; %bb.12:
	s_add_u32 s6, s16, s6
	s_addc_u32 s7, s17, s7
	s_load_dwordx2 s[6:7], s[6:7], 0x0
	s_mov_b32 s14, 0x15e75bc
	v_mul_hi_u32 v5, v0, s14
	v_lshlrev_b64 v[6:7], 2, v[6:7]
	s_waitcnt lgkmcnt(0)
	v_mul_lo_u32 v10, s7, v3
	v_mul_lo_u32 v11, s6, v4
	v_mad_u64_u32 v[8:9], s[6:7], s6, v3, 0
	v_mul_u32_u24_e32 v5, 0xbb, v5
	v_sub_u32_e32 v5, v0, v5
	v_add3_u32 v9, v9, v11, v10
	v_lshlrev_b64 v[8:9], 2, v[8:9]
	v_mov_b32_e32 v0, s9
	v_add_co_u32_e32 v8, vcc, s8, v8
	v_addc_co_u32_e32 v0, vcc, v0, v9, vcc
	v_add_co_u32_e32 v6, vcc, v8, v6
	v_addc_co_u32_e32 v0, vcc, v0, v7, vcc
	v_lshlrev_b32_e32 v11, 2, v5
	v_add_co_u32_e32 v7, vcc, v6, v11
	v_addc_co_u32_e32 v8, vcc, 0, v0, vcc
	s_movk_i32 s6, 0x1000
	v_add_co_u32_e32 v9, vcc, s6, v7
	v_addc_co_u32_e32 v10, vcc, 0, v8, vcc
	global_load_dword v12, v[7:8], off
	global_load_dword v13, v[7:8], off offset:748
	global_load_dword v14, v[7:8], off offset:1496
	;; [unrolled: 1-line block ×9, first 2 shown]
	s_movk_i32 s6, 0xba
	v_add_u32_e32 v7, 0, v11
	v_cmp_eq_u32_e32 vcc, s6, v5
	v_add_u32_e32 v8, 0x500, v7
	v_add_u32_e32 v9, 0xb00, v7
	;; [unrolled: 1-line block ×4, first 2 shown]
	s_waitcnt vmcnt(8)
	ds_write2_b32 v7, v12, v13 offset1:187
	s_waitcnt vmcnt(6)
	ds_write2_b32 v8, v14, v15 offset0:54 offset1:241
	s_waitcnt vmcnt(4)
	ds_write2_b32 v9, v16, v17 offset0:44 offset1:231
	;; [unrolled: 2-line block ×4, first 2 shown]
	s_and_saveexec_b64 s[6:7], vcc
	s_cbranch_execz .LBB0_14
; %bb.13:
	v_add_co_u32_e32 v5, vcc, 0x1000, v6
	v_addc_co_u32_e32 v6, vcc, 0, v0, vcc
	global_load_dword v0, v[5:6], off offset:3384
	v_mov_b32_e32 v5, 0
	s_waitcnt vmcnt(0)
	ds_write_b32 v5, v0 offset:7480
	v_mov_b32_e32 v5, 0xba
.LBB0_14:
	s_or_b64 exec, exec, s[6:7]
.LBB0_15:
	s_or_b64 exec, exec, s[4:5]
	v_lshlrev_b32_e32 v6, 2, v5
	v_add_u32_e32 v0, 0, v6
	s_waitcnt lgkmcnt(0)
	s_barrier
	v_sub_u32_e32 v8, 0, v6
	ds_read_u16 v11, v0
	ds_read_u16 v12, v8 offset:7480
	s_add_u32 s6, s12, 0x1cf4
	s_addc_u32 s7, s13, 0
	v_cmp_ne_u32_e32 vcc, 0, v5
                                        ; implicit-def: $vgpr6_vgpr7
	s_waitcnt lgkmcnt(0)
	v_add_f16_e32 v9, v12, v11
	v_sub_f16_e32 v10, v11, v12
	s_and_saveexec_b64 s[4:5], vcc
	s_xor_b64 s[4:5], exec, s[4:5]
	s_cbranch_execz .LBB0_17
; %bb.16:
	v_mov_b32_e32 v6, 0
	v_lshlrev_b64 v[9:10], 2, v[5:6]
	v_mov_b32_e32 v7, s7
	v_add_co_u32_e32 v9, vcc, s6, v9
	v_addc_co_u32_e32 v10, vcc, v7, v10, vcc
	global_load_dword v7, v[9:10], off
	ds_read_u16 v9, v8 offset:7482
	ds_read_u16 v10, v0 offset:2
	v_add_f16_e32 v13, v12, v11
	v_sub_f16_e32 v11, v11, v12
	s_waitcnt lgkmcnt(0)
	v_add_f16_e32 v12, v9, v10
	v_sub_f16_e32 v9, v10, v9
	s_waitcnt vmcnt(0)
	v_lshrrev_b32_e32 v10, 16, v7
	v_fma_f16 v14, v11, v10, v13
	v_fma_f16 v15, v12, v10, v9
	v_fma_f16 v13, -v11, v10, v13
	v_fma_f16 v16, v12, v10, -v9
	v_fma_f16 v9, -v7, v12, v14
	v_fma_f16 v10, v11, v7, v15
	v_fma_f16 v12, v7, v12, v13
	;; [unrolled: 1-line block ×3, first 2 shown]
	v_pack_b32_f16 v7, v12, v7
	ds_write_b32 v8, v7 offset:7480
	v_mov_b32_e32 v7, v6
	v_mov_b32_e32 v6, v5
.LBB0_17:
	s_andn2_saveexec_b64 s[4:5], s[4:5]
	s_cbranch_execz .LBB0_19
; %bb.18:
	v_mov_b32_e32 v11, 0
	ds_read_b32 v6, v11 offset:3740
	s_mov_b32 s8, 0xc0004000
	s_waitcnt lgkmcnt(0)
	v_pk_mul_f16 v12, v6, s8
	v_mov_b32_e32 v6, 0
	v_mov_b32_e32 v7, 0
	ds_write_b32 v11, v12 offset:3740
.LBB0_19:
	s_or_b64 exec, exec, s[4:5]
	v_lshlrev_b64 v[6:7], 2, v[6:7]
	v_mov_b32_e32 v11, s7
	v_add_co_u32_e32 v6, vcc, s6, v6
	v_addc_co_u32_e32 v7, vcc, v11, v7, vcc
	global_load_dword v11, v[6:7], off offset:748
	global_load_dword v12, v[6:7], off offset:1496
	;; [unrolled: 1-line block ×4, first 2 shown]
	s_mov_b32 s6, 0x5040100
	v_perm_b32 v6, v10, v9, s6
	ds_write_b32 v0, v6
	ds_read_b32 v6, v0 offset:748
	ds_read_b32 v7, v8 offset:6732
	v_add_u32_e32 v9, 0x1800, v0
	v_add_u32_e32 v10, 0x200, v0
	s_mov_b32 s7, 0xb836
	s_mov_b32 s9, 0xbacd
	s_waitcnt lgkmcnt(0)
	v_add_f16_e32 v15, v6, v7
	v_add_f16_sdwa v16, v7, v6 dst_sel:DWORD dst_unused:UNUSED_PAD src0_sel:WORD_1 src1_sel:WORD_1
	v_sub_f16_e32 v17, v6, v7
	v_sub_f16_sdwa v6, v6, v7 dst_sel:DWORD dst_unused:UNUSED_PAD src0_sel:WORD_1 src1_sel:WORD_1
	s_mov_b32 s24, 0xbbf7
	s_movk_i32 s15, 0x2de8
	s_movk_i32 s25, 0x3a62
	s_mov_b32 s16, 0xb8d2
	s_movk_i32 s8, 0x3b29
	s_movk_i32 s14, 0x3722
	s_mov_b32 s26, 0xb5c8
	s_movk_i32 s20, 0x3b76
	s_mov_b32 s17, 0xb1e1
	s_mov_b32 s23, 0xbbdd
	s_movk_i32 s18, 0x3964
	s_movk_i32 s22, 0x39e9
	s_mov_b32 s19, 0xbbb2
	s_mov_b32 s21, 0xb461
	s_movk_i32 s4, 0x6e
	v_cmp_gt_u32_e32 vcc, s4, v5
	s_waitcnt vmcnt(3)
	v_lshrrev_b32_e32 v7, 16, v11
	v_fma_f16 v18, v17, v7, v15
	v_fma_f16 v19, v16, v7, v6
	v_fma_f16 v15, -v17, v7, v15
	v_fma_f16 v6, v16, v7, -v6
	v_fma_f16 v7, -v11, v16, v18
	v_fma_f16 v18, v17, v11, v19
	v_fma_f16 v15, v11, v16, v15
	;; [unrolled: 1-line block ×3, first 2 shown]
	v_pack_b32_f16 v7, v7, v18
	v_pack_b32_f16 v6, v15, v6
	ds_write_b32 v0, v7 offset:748
	ds_write_b32 v8, v6 offset:6732
	ds_read_b32 v6, v0 offset:1496
	ds_read_b32 v7, v8 offset:5984
	s_waitcnt vmcnt(2)
	v_lshrrev_b32_e32 v11, 16, v12
	s_waitcnt lgkmcnt(0)
	v_add_f16_e32 v15, v6, v7
	v_add_f16_sdwa v16, v7, v6 dst_sel:DWORD dst_unused:UNUSED_PAD src0_sel:WORD_1 src1_sel:WORD_1
	v_sub_f16_e32 v17, v6, v7
	v_sub_f16_sdwa v6, v6, v7 dst_sel:DWORD dst_unused:UNUSED_PAD src0_sel:WORD_1 src1_sel:WORD_1
	v_fma_f16 v7, v17, v11, v15
	v_fma_f16 v18, v16, v11, v6
	v_fma_f16 v15, -v17, v11, v15
	v_fma_f16 v6, v16, v11, -v6
	v_fma_f16 v7, -v12, v16, v7
	v_fma_f16 v11, v17, v12, v18
	v_fma_f16 v15, v12, v16, v15
	;; [unrolled: 1-line block ×3, first 2 shown]
	v_pack_b32_f16 v7, v7, v11
	v_pack_b32_f16 v6, v15, v6
	ds_write_b32 v0, v7 offset:1496
	ds_write_b32 v8, v6 offset:5984
	ds_read_b32 v6, v0 offset:2244
	ds_read_b32 v7, v8 offset:5236
	s_waitcnt vmcnt(1)
	v_lshrrev_b32_e32 v11, 16, v13
	s_waitcnt lgkmcnt(0)
	v_add_f16_e32 v12, v6, v7
	v_add_f16_sdwa v15, v7, v6 dst_sel:DWORD dst_unused:UNUSED_PAD src0_sel:WORD_1 src1_sel:WORD_1
	v_sub_f16_e32 v16, v6, v7
	v_sub_f16_sdwa v6, v6, v7 dst_sel:DWORD dst_unused:UNUSED_PAD src0_sel:WORD_1 src1_sel:WORD_1
	v_fma_f16 v7, v16, v11, v12
	v_fma_f16 v17, v15, v11, v6
	v_fma_f16 v12, -v16, v11, v12
	v_fma_f16 v6, v15, v11, -v6
	v_fma_f16 v7, -v13, v15, v7
	v_fma_f16 v11, v16, v13, v17
	v_fma_f16 v12, v13, v15, v12
	;; [unrolled: 1-line block ×3, first 2 shown]
	v_pack_b32_f16 v7, v7, v11
	v_pack_b32_f16 v6, v12, v6
	ds_write_b32 v0, v7 offset:2244
	ds_write_b32 v8, v6 offset:5236
	ds_read_b32 v6, v0 offset:2992
	ds_read_b32 v7, v8 offset:4488
	s_waitcnt vmcnt(0)
	v_lshrrev_b32_e32 v13, 16, v14
	v_add_u32_e32 v11, 0x1400, v0
	v_add_u32_e32 v12, 0x600, v0
	s_waitcnt lgkmcnt(0)
	v_add_f16_e32 v15, v6, v7
	v_add_f16_sdwa v16, v7, v6 dst_sel:DWORD dst_unused:UNUSED_PAD src0_sel:WORD_1 src1_sel:WORD_1
	v_sub_f16_e32 v17, v6, v7
	v_sub_f16_sdwa v6, v6, v7 dst_sel:DWORD dst_unused:UNUSED_PAD src0_sel:WORD_1 src1_sel:WORD_1
	v_fma_f16 v7, v17, v13, v15
	v_fma_f16 v18, v16, v13, v6
	v_fma_f16 v15, -v17, v13, v15
	v_fma_f16 v6, v16, v13, -v6
	v_fma_f16 v7, -v14, v16, v7
	v_fma_f16 v13, v17, v14, v18
	v_fma_f16 v15, v14, v16, v15
	;; [unrolled: 1-line block ×3, first 2 shown]
	v_pack_b32_f16 v7, v7, v13
	v_pack_b32_f16 v6, v15, v6
	ds_write_b32 v0, v7 offset:2992
	ds_write_b32 v8, v6 offset:4488
	s_waitcnt lgkmcnt(0)
	s_barrier
	s_barrier
	ds_read2_b32 v[6:7], v0 offset1:110
	ds_read_b32 v35, v0 offset:7040
	ds_read2_b32 v[8:9], v9 offset0:4 offset1:114
	ds_read2_b32 v[20:21], v10 offset0:92 offset1:202
	;; [unrolled: 1-line block ×4, first 2 shown]
	s_waitcnt lgkmcnt(4)
	v_pk_add_f16 v24, v7, v35 neg_lo:[0,1] neg_hi:[0,1]
	v_pk_add_f16 v31, v35, v7
	s_waitcnt lgkmcnt(2)
	v_pk_add_f16 v26, v21, v8 neg_lo:[0,1] neg_hi:[0,1]
	v_pk_mul_f16 v12, v24, s7 op_sel_hi:[1,0]
	v_pk_add_f16 v29, v8, v21
	v_pk_fma_f16 v45, v31, s9, v12 op_sel:[0,0,1] op_sel_hi:[1,0,0]
	v_pk_fma_f16 v46, v31, s9, v12 op_sel:[0,0,1] op_sel_hi:[1,0,0] neg_lo:[0,0,1] neg_hi:[0,0,1]
	v_pk_mul_f16 v12, v26, s24 op_sel_hi:[1,0]
	s_waitcnt lgkmcnt(0)
	v_pk_add_f16 v27, v18, v11 neg_lo:[0,1] neg_hi:[0,1]
	v_pk_fma_f16 v49, v29, s15, v12 op_sel:[0,0,1] op_sel_hi:[1,0,0]
	v_pk_fma_f16 v50, v29, s15, v12 op_sel:[0,0,1] op_sel_hi:[1,0,0] neg_lo:[0,0,1] neg_hi:[0,0,1]
	v_pk_add_f16 v32, v11, v18
	v_pk_mul_f16 v12, v27, s25 op_sel_hi:[1,0]
	v_pk_add_f16 v25, v20, v9 neg_lo:[0,1] neg_hi:[0,1]
	v_pk_fma_f16 v51, v32, s16, v12 op_sel:[0,0,1] op_sel_hi:[1,0,0]
	v_pk_fma_f16 v52, v32, s16, v12 op_sel:[0,0,1] op_sel_hi:[1,0,0] neg_lo:[0,0,1] neg_hi:[0,0,1]
	v_add_u32_e32 v12, 0xa00, v0
	v_pk_add_f16 v30, v9, v20
	v_pk_mul_f16 v13, v25, s8 op_sel_hi:[1,0]
	ds_read2_b32 v[14:15], v12 offset0:20 offset1:130
	v_add_u32_e32 v12, 0x1000, v0
	v_pk_fma_f16 v47, v30, s14, v13 op_sel:[0,0,1] op_sel_hi:[1,0,0]
	v_pk_fma_f16 v48, v30, s14, v13 op_sel:[0,0,1] op_sel_hi:[1,0,0] neg_lo:[0,0,1] neg_hi:[0,0,1]
	ds_read2_b32 v[12:13], v12 offset0:76 offset1:186
	v_pk_add_f16 v28, v19, v10 neg_lo:[0,1] neg_hi:[0,1]
	v_pk_add_f16 v34, v10, v19
	v_pk_mul_f16 v16, v28, s26 op_sel_hi:[1,0]
	v_pk_fma_f16 v53, v34, s20, v16 op_sel:[0,0,1] op_sel_hi:[1,0,0]
	s_waitcnt lgkmcnt(0)
	v_pk_add_f16 v33, v14, v13 neg_lo:[0,1] neg_hi:[0,1]
	v_pk_fma_f16 v54, v34, s20, v16 op_sel:[0,0,1] op_sel_hi:[1,0,0] neg_lo:[0,0,1] neg_hi:[0,0,1]
	v_pk_add_f16 v37, v13, v14
	v_pk_mul_f16 v16, v33, s17 op_sel_hi:[1,0]
	v_pk_add_f16 v36, v15, v12 neg_lo:[0,1] neg_hi:[0,1]
	v_pk_fma_f16 v55, v37, s23, v16 op_sel:[0,0,1] op_sel_hi:[1,0,0]
	v_pk_fma_f16 v56, v37, s23, v16 op_sel:[0,0,1] op_sel_hi:[1,0,0] neg_lo:[0,0,1] neg_hi:[0,0,1]
	v_pk_add_f16 v38, v12, v15
	v_pk_mul_f16 v16, v36, s18 op_sel_hi:[1,0]
	v_pk_fma_f16 v57, v38, s22, v16 op_sel:[0,0,1] op_sel_hi:[1,0,0]
	v_pk_fma_f16 v58, v38, s22, v16 op_sel:[0,0,1] op_sel_hi:[1,0,0] neg_lo:[0,0,1] neg_hi:[0,0,1]
	v_add_f16_e32 v16, v6, v45
	v_add_f16_e32 v16, v47, v16
	;; [unrolled: 1-line block ×3, first 2 shown]
	v_add_u32_e32 v16, 0xc00, v0
	ds_read2_b32 v[16:17], v16 offset0:112 offset1:222
	v_add_f16_e32 v22, v51, v22
	v_add_f16_e32 v22, v53, v22
	v_add_f16_e32 v22, v55, v22
	v_add_f16_e32 v22, v57, v22
	s_waitcnt lgkmcnt(0)
	v_pk_add_f16 v39, v16, v17 neg_lo:[0,1] neg_hi:[0,1]
	v_pk_add_f16 v40, v17, v16
	v_pk_mul_f16 v23, v39, s19 op_sel_hi:[1,0]
	v_pk_fma_f16 v59, v40, s21, v23 op_sel:[0,0,1] op_sel_hi:[1,0,0]
	v_pk_fma_f16 v60, v40, s21, v23 op_sel:[0,0,1] op_sel_hi:[1,0,0] neg_lo:[0,0,1] neg_hi:[0,0,1]
	v_add_f16_sdwa v23, v6, v46 dst_sel:DWORD dst_unused:UNUSED_PAD src0_sel:WORD_1 src1_sel:WORD_1
	v_add_f16_sdwa v23, v48, v23 dst_sel:DWORD dst_unused:UNUSED_PAD src0_sel:WORD_1 src1_sel:DWORD
	v_add_f16_sdwa v23, v50, v23 dst_sel:DWORD dst_unused:UNUSED_PAD src0_sel:WORD_1 src1_sel:DWORD
	;; [unrolled: 1-line block ×6, first 2 shown]
	v_add_f16_e32 v22, v59, v22
	v_add_f16_sdwa v23, v60, v23 dst_sel:DWORD dst_unused:UNUSED_PAD src0_sel:WORD_1 src1_sel:DWORD
	s_barrier
	s_and_saveexec_b64 s[4:5], vcc
	s_cbranch_execz .LBB0_21
; %bb.20:
	v_pk_add_f16 v7, v6, v7
	v_pk_add_f16 v7, v7, v20
	v_pk_add_f16 v21, v7, v21
	v_pk_add_f16 v18, v21, v18
	v_pk_add_f16 v21, v18, v19
	v_pk_add_f16 v14, v21, v14
	v_lshrrev_b32_e32 v41, 16, v31
	v_mul_f16_e32 v44, 0xb964, v24
	v_pk_add_f16 v14, v14, v15
	v_lshrrev_b32_e32 v42, 16, v30
	v_fma_f16 v61, v41, s22, v44
	v_mul_f16_e32 v20, 0xbbf7, v25
	v_pk_add_f16 v14, v14, v16
	v_lshrrev_b32_e32 v43, 16, v29
	v_add_f16_sdwa v61, v6, v61 dst_sel:DWORD dst_unused:UNUSED_PAD src0_sel:WORD_1 src1_sel:DWORD
	v_fma_f16 v7, v42, s15, v20
	v_mul_f16_e32 v19, 0xba62, v26
	v_pk_add_f16 v14, v14, v17
	v_add_f16_e32 v61, v7, v61
	v_lshrrev_b32_e32 v7, 16, v32
	v_fma_f16 v18, v43, s16, v19
	v_mul_f16_e32 v15, 0xb1e1, v27
	v_pk_add_f16 v12, v14, v12
	v_add_f16_e32 v61, v18, v61
	v_lshrrev_b32_e32 v18, 16, v34
	;; [unrolled: 5-line block ×4, first 2 shown]
	v_fma_f16 v14, v61, s21, v13
	v_pk_add_f16 v10, v10, v11
	v_mul_f16_e32 v11, 0x3b29, v36
	v_add_f16_e32 v14, v14, v17
	v_fma_f16 v12, v21, s14, v11
	v_lshrrev_b32_e32 v17, 16, v40
	v_add_f16_e32 v12, v12, v14
	v_mul_f16_e32 v14, 0x35c8, v39
	v_pk_add_f16 v8, v10, v8
	v_fma_f16 v62, v17, s20, v14
	s_mov_b32 s31, 0xb964
	v_pk_add_f16 v8, v8, v9
	v_mul_f16_sdwa v9, v24, s26 dst_sel:DWORD dst_unused:UNUSED_PAD src0_sel:WORD_1 src1_sel:DWORD
	v_add_f16_e32 v12, v62, v12
	v_fma_f16 v10, v31, s20, -v9
	v_mul_f16_sdwa v62, v25, s31 dst_sel:DWORD dst_unused:UNUSED_PAD src0_sel:WORD_1 src1_sel:DWORD
	v_add_f16_e32 v10, v6, v10
	v_fma_f16 v63, v30, s22, -v62
	s_mov_b32 s33, 0xbb29
	v_add_f16_e32 v10, v63, v10
	v_mul_f16_sdwa v63, v26, s33 dst_sel:DWORD dst_unused:UNUSED_PAD src0_sel:WORD_1 src1_sel:DWORD
	v_fma_f16 v64, v29, s14, -v63
	v_add_f16_e32 v10, v64, v10
	v_mul_f16_sdwa v64, v27, s24 dst_sel:DWORD dst_unused:UNUSED_PAD src0_sel:WORD_1 src1_sel:DWORD
	v_fma_f16 v65, v32, s15, -v64
	v_add_f16_e32 v10, v65, v10
	v_mul_f16_sdwa v65, v28, s19 dst_sel:DWORD dst_unused:UNUSED_PAD src0_sel:WORD_1 src1_sel:DWORD
	v_fma_f16 v66, v34, s21, -v65
	s_mov_b32 s28, 0xba62
	v_add_f16_e32 v10, v66, v10
	v_mul_f16_sdwa v66, v33, s28 dst_sel:DWORD dst_unused:UNUSED_PAD src0_sel:WORD_1 src1_sel:DWORD
	v_fma_f16 v67, v37, s16, -v66
	v_add_f16_e32 v10, v67, v10
	v_mul_f16_sdwa v67, v36, s7 dst_sel:DWORD dst_unused:UNUSED_PAD src0_sel:WORD_1 src1_sel:DWORD
	v_fma_f16 v68, v38, s9, -v67
	;; [unrolled: 3-line block ×3, first 2 shown]
	s_mov_b32 s29, 0x3b7639e9
	v_add_f16_e32 v10, v69, v10
	s_mov_b32 s30, 0xb964b5c8
	s_mov_b32 s34, 0x39e92de8
	v_pk_mul_f16 v69, v31, s29
	s_mov_b32 s27, 0xffff
	s_mov_b32 s35, 0xbbf7b964
	v_pk_fma_f16 v70, v24, s30, v69 op_sel:[0,0,1] op_sel_hi:[1,1,0]
	v_pk_fma_f16 v69, v24, s30, v69 op_sel:[0,0,1] op_sel_hi:[1,1,0] neg_lo:[1,0,0] neg_hi:[1,0,0]
	v_pk_mul_f16 v71, v30, s34
	v_pk_fma_f16 v72, v25, s35, v71 op_sel:[0,0,1] op_sel_hi:[1,1,0]
	v_pk_fma_f16 v71, v25, s35, v71 op_sel:[0,0,1] op_sel_hi:[1,1,0] neg_lo:[1,0,0] neg_hi:[1,0,0]
	v_alignbit_b32 v73, v6, v6, 16
	v_bfi_b32 v74, s27, v70, v69
	v_pk_add_f16 v74, v73, v74
	v_bfi_b32 v75, s27, v72, v71
	s_mov_b32 s29, 0x3722b8d2
	v_pk_add_f16 v74, v75, v74
	s_mov_b32 s30, 0xba62bb29
	v_pk_mul_f16 v75, v29, s29
	v_pk_fma_f16 v76, v26, s30, v75 op_sel:[0,0,1] op_sel_hi:[1,1,0]
	v_pk_fma_f16 v75, v26, s30, v75 op_sel:[0,0,1] op_sel_hi:[1,1,0] neg_lo:[1,0,0] neg_hi:[1,0,0]
	v_bfi_b32 v77, s27, v76, v75
	s_mov_b32 s29, 0x2de8bbdd
	v_pk_add_f16 v74, v77, v74
	s_mov_b32 s30, 0xb1e1bbf7
	v_pk_mul_f16 v77, v32, s29
	v_pk_fma_f16 v78, v27, s30, v77 op_sel:[0,0,1] op_sel_hi:[1,1,0]
	v_pk_fma_f16 v77, v27, s30, v77 op_sel:[0,0,1] op_sel_hi:[1,1,0] neg_lo:[1,0,0] neg_hi:[1,0,0]
	;; [unrolled: 7-line block ×5, first 2 shown]
	v_bfi_b32 v85, s27, v84, v83
	s_mov_b32 s30, 0xbbdd3b76
	v_pk_add_f16 v74, v85, v74
	s_mov_b32 s29, 0x35c8b1e1
	v_pk_mul_f16 v85, v40, s30
	v_pk_fma_f16 v86, v39, s29, v85 op_sel:[0,0,1] op_sel_hi:[1,1,0] neg_lo:[1,0,0] neg_hi:[1,0,0]
	v_pk_fma_f16 v87, v39, s29, v85 op_sel:[0,0,1] op_sel_hi:[1,1,0]
	v_bfi_b32 v87, s27, v87, v86
	v_pk_add_f16 v74, v87, v74
	v_alignbit_b32 v12, v12, v74, 16
	v_pack_b32_f16 v10, v10, v74
	v_lshl_add_u32 v74, v5, 6, v0
	ds_write2_b32 v74, v10, v12 offset0:1 offset1:2
	v_bfi_b32 v10, s27, v46, v45
	v_bfi_b32 v46, s27, v52, v51
	v_mul_f16_e32 v51, 0xba62, v24
	v_bfi_b32 v12, s27, v48, v47
	v_bfi_b32 v47, s27, v54, v53
	v_fma_f16 v52, v41, s16, v51
	v_mul_f16_e32 v53, 0x3bb2, v25
	v_add_f16_sdwa v52, v6, v52 dst_sel:DWORD dst_unused:UNUSED_PAD src0_sel:WORD_1 src1_sel:DWORD
	v_fma_f16 v54, v42, s21, v53
	v_add_f16_e32 v52, v54, v52
	v_mul_f16_e32 v54, 0xb5c8, v26
	v_bfi_b32 v48, s27, v56, v55
	v_fma_f16 v55, v43, s20, v54
	v_add_f16_e32 v52, v55, v52
	v_mul_f16_e32 v55, 0xb836, v27
	v_fma_f16 v56, v7, s9, v55
	v_add_f16_e32 v52, v56, v52
	v_mul_f16_e32 v56, 0x3bf7, v28
	v_bfi_b32 v45, s27, v50, v49
	v_bfi_b32 v49, s27, v58, v57
	v_fma_f16 v57, v18, s15, v56
	v_add_f16_e32 v52, v57, v52
	v_mul_f16_e32 v57, 0xb964, v33
	v_fma_f16 v58, v61, s22, v57
	v_add_f16_e32 v52, v58, v52
	v_mul_f16_e32 v58, 0xb1e1, v36
	v_bfi_b32 v50, s27, v60, v59
	v_fma_f16 v59, v21, s23, v58
	v_add_f16_e32 v52, v59, v52
	v_mul_f16_e32 v59, 0x3b29, v39
	v_fma_f16 v60, v17, s14, v59
	v_add_f16_e32 v52, v60, v52
	s_movk_i32 s34, 0x3bb2
	v_mul_f16_sdwa v60, v24, s28 dst_sel:DWORD dst_unused:UNUSED_PAD src0_sel:WORD_1 src1_sel:DWORD
	v_fma_f16 v87, v31, s16, -v60
	v_mul_f16_sdwa v88, v25, s34 dst_sel:DWORD dst_unused:UNUSED_PAD src0_sel:WORD_1 src1_sel:DWORD
	v_add_f16_e32 v87, v6, v87
	v_fma_f16 v89, v30, s21, -v88
	v_add_f16_e32 v87, v89, v87
	v_mul_f16_sdwa v89, v26, s26 dst_sel:DWORD dst_unused:UNUSED_PAD src0_sel:WORD_1 src1_sel:DWORD
	v_fma_f16 v90, v29, s20, -v89
	v_add_f16_e32 v87, v90, v87
	v_mul_f16_sdwa v90, v27, s7 dst_sel:DWORD dst_unused:UNUSED_PAD src0_sel:WORD_1 src1_sel:DWORD
	v_fma_f16 v91, v32, s9, -v90
	s_movk_i32 s30, 0x3bf7
	v_add_f16_e32 v87, v91, v87
	v_mul_f16_sdwa v91, v28, s30 dst_sel:DWORD dst_unused:UNUSED_PAD src0_sel:WORD_1 src1_sel:DWORD
	v_fma_f16 v92, v34, s15, -v91
	v_add_f16_e32 v87, v92, v87
	v_mul_f16_sdwa v92, v33, s31 dst_sel:DWORD dst_unused:UNUSED_PAD src0_sel:WORD_1 src1_sel:DWORD
	v_fma_f16 v93, v37, s22, -v92
	;; [unrolled: 3-line block ×4, first 2 shown]
	v_add_f16_e32 v87, v95, v87
	v_mul_f16_e32 v95, 0xbbb2, v24
	v_fma_f16 v96, v41, s21, v95
	v_mul_f16_e32 v97, 0x3836, v25
	v_add_f16_sdwa v96, v6, v96 dst_sel:DWORD dst_unused:UNUSED_PAD src0_sel:WORD_1 src1_sel:DWORD
	v_fma_f16 v98, v42, s9, v97
	v_add_f16_e32 v96, v98, v96
	v_mul_f16_e32 v98, 0x3964, v26
	v_fma_f16 v99, v43, s22, v98
	v_add_f16_e32 v96, v99, v96
	v_mul_f16_e32 v99, 0xbb29, v27
	;; [unrolled: 3-line block ×6, first 2 shown]
	v_fma_f16 v104, v17, s16, v103
	v_add_f16_e32 v96, v104, v96
	s_movk_i32 s31, 0x3836
	v_mul_f16_sdwa v104, v24, s19 dst_sel:DWORD dst_unused:UNUSED_PAD src0_sel:WORD_1 src1_sel:DWORD
	v_fma_f16 v105, v31, s21, -v104
	v_mul_f16_sdwa v106, v25, s31 dst_sel:DWORD dst_unused:UNUSED_PAD src0_sel:WORD_1 src1_sel:DWORD
	v_add_f16_e32 v105, v6, v105
	v_fma_f16 v107, v30, s9, -v106
	v_add_f16_e32 v105, v107, v105
	v_mul_f16_sdwa v107, v26, s18 dst_sel:DWORD dst_unused:UNUSED_PAD src0_sel:WORD_1 src1_sel:DWORD
	v_fma_f16 v108, v29, s22, -v107
	v_add_f16_e32 v105, v108, v105
	v_mul_f16_sdwa v108, v27, s33 dst_sel:DWORD dst_unused:UNUSED_PAD src0_sel:WORD_1 src1_sel:DWORD
	;; [unrolled: 3-line block ×5, first 2 shown]
	v_fma_f16 v51, v41, s16, -v51
	v_fma_f16 v112, v38, s20, -v111
	v_add_f16_sdwa v51, v6, v51 dst_sel:DWORD dst_unused:UNUSED_PAD src0_sel:WORD_1 src1_sel:DWORD
	v_fma_f16 v53, v42, s21, -v53
	v_add_f16_e32 v105, v112, v105
	v_mul_f16_sdwa v112, v39, s28 dst_sel:DWORD dst_unused:UNUSED_PAD src0_sel:WORD_1 src1_sel:DWORD
	v_add_f16_e32 v51, v53, v51
	v_fma_f16 v53, v43, s20, -v54
	v_fma_f16 v113, v40, s16, -v112
	v_add_f16_e32 v51, v53, v51
	v_fma_f16 v53, v7, s9, -v55
	v_add_f16_e32 v105, v113, v105
	v_mul_f16_e32 v113, 0xbbf7, v24
	v_add_f16_e32 v51, v53, v51
	v_fma_f16 v53, v18, s15, -v56
	v_fma_f16 v114, v41, s15, v113
	v_mul_f16_e32 v115, 0xb1e1, v25
	v_add_f16_e32 v51, v53, v51
	v_fma_f16 v53, v61, s22, -v57
	v_add_f16_sdwa v114, v6, v114 dst_sel:DWORD dst_unused:UNUSED_PAD src0_sel:WORD_1 src1_sel:DWORD
	v_fma_f16 v116, v42, s23, v115
	v_add_f16_e32 v51, v53, v51
	v_fma_f16 v53, v21, s23, -v58
	v_add_f16_e32 v114, v116, v114
	v_mul_f16_e32 v116, 0x3bb2, v26
	v_add_f16_e32 v51, v53, v51
	v_fma_f16 v53, v17, s14, -v59
	v_fma_f16 v117, v43, s21, v116
	v_add_f16_e32 v51, v53, v51
	v_fma_f16 v53, v31, s16, v60
	v_add_f16_e32 v114, v117, v114
	v_mul_f16_e32 v117, 0x35c8, v27
	v_add_f16_e32 v53, v6, v53
	v_fma_f16 v54, v30, s21, v88
	v_fma_f16 v118, v7, s20, v117
	v_add_f16_e32 v53, v54, v53
	v_fma_f16 v54, v29, s20, v89
	v_add_f16_e32 v114, v118, v114
	v_mul_f16_e32 v118, 0xbb29, v28
	v_add_f16_e32 v53, v54, v53
	v_fma_f16 v54, v32, s9, v90
	;; [unrolled: 7-line block ×4, first 2 shown]
	v_fma_f16 v121, v21, s16, v120
	v_add_f16_e32 v53, v54, v53
	v_fma_f16 v54, v41, s21, -v95
	v_add_f16_e32 v114, v121, v114
	v_mul_f16_e32 v121, 0x3964, v39
	v_add_f16_sdwa v54, v6, v54 dst_sel:DWORD dst_unused:UNUSED_PAD src0_sel:WORD_1 src1_sel:DWORD
	v_fma_f16 v55, v42, s9, -v97
	v_fma_f16 v122, v17, s22, v121
	v_add_f16_e32 v54, v55, v54
	v_fma_f16 v55, v43, s22, -v98
	v_add_f16_e32 v114, v122, v114
	v_mul_f16_sdwa v122, v24, s24 dst_sel:DWORD dst_unused:UNUSED_PAD src0_sel:WORD_1 src1_sel:DWORD
	v_add_f16_e32 v54, v55, v54
	v_fma_f16 v55, v7, s14, -v99
	v_fma_f16 v123, v31, s15, -v122
	v_mul_f16_sdwa v124, v25, s17 dst_sel:DWORD dst_unused:UNUSED_PAD src0_sel:WORD_1 src1_sel:DWORD
	v_add_f16_e32 v54, v55, v54
	v_fma_f16 v55, v18, s23, -v100
	v_add_f16_e32 v123, v6, v123
	v_fma_f16 v125, v30, s23, -v124
	;; [unrolled: 2-line block ×3, first 2 shown]
	v_add_f16_e32 v123, v125, v123
	v_mul_f16_sdwa v125, v26, s34 dst_sel:DWORD dst_unused:UNUSED_PAD src0_sel:WORD_1 src1_sel:DWORD
	v_add_f16_e32 v54, v55, v54
	v_fma_f16 v55, v21, s20, -v102
	v_fma_f16 v126, v29, s21, -v125
	s_movk_i32 s31, 0x35c8
	v_add_f16_e32 v54, v55, v54
	v_fma_f16 v55, v17, s16, -v103
	v_add_f16_e32 v123, v126, v123
	v_mul_f16_sdwa v126, v27, s31 dst_sel:DWORD dst_unused:UNUSED_PAD src0_sel:WORD_1 src1_sel:DWORD
	v_add_f16_e32 v54, v55, v54
	v_fma_f16 v55, v31, s21, v104
	v_fma_f16 v127, v32, s20, -v126
	v_add_f16_e32 v55, v6, v55
	v_fma_f16 v56, v30, s9, v106
	v_add_f16_e32 v123, v127, v123
	v_mul_f16_sdwa v127, v28, s33 dst_sel:DWORD dst_unused:UNUSED_PAD src0_sel:WORD_1 src1_sel:DWORD
	v_add_f16_e32 v55, v56, v55
	v_fma_f16 v56, v29, s22, v107
	v_fma_f16 v128, v34, s14, -v127
	v_add_f16_e32 v55, v56, v55
	v_fma_f16 v56, v32, s14, v108
	;; [unrolled: 7-line block ×4, first 2 shown]
	v_add_f16_e32 v123, v130, v123
	v_mul_f16_sdwa v130, v39, s18 dst_sel:DWORD dst_unused:UNUSED_PAD src0_sel:WORD_1 src1_sel:DWORD
	v_add_f16_e32 v55, v56, v55
	v_fma_f16 v56, v41, s15, -v113
	v_fma_f16 v131, v40, s22, -v130
	v_add_f16_sdwa v56, v6, v56 dst_sel:DWORD dst_unused:UNUSED_PAD src0_sel:WORD_1 src1_sel:DWORD
	v_fma_f16 v57, v42, s23, -v115
	v_add_f16_e32 v123, v131, v123
	v_mul_f16_e32 v131, 0xbb29, v24
	v_add_f16_e32 v56, v57, v56
	v_fma_f16 v57, v43, s21, -v116
	v_fma_f16 v132, v41, s14, v131
	v_mul_f16_e32 v133, 0xba62, v25
	v_add_f16_e32 v56, v57, v56
	v_fma_f16 v57, v7, s20, -v117
	v_add_f16_sdwa v132, v6, v132 dst_sel:DWORD dst_unused:UNUSED_PAD src0_sel:WORD_1 src1_sel:DWORD
	v_fma_f16 v134, v42, s16, v133
	v_add_f16_e32 v56, v57, v56
	v_fma_f16 v57, v18, s14, -v118
	v_add_f16_e32 v132, v134, v132
	v_mul_f16_e32 v134, 0x31e1, v26
	v_add_f16_e32 v56, v57, v56
	v_fma_f16 v57, v61, s9, -v119
	v_fma_f16 v135, v43, s23, v134
	v_add_f16_e32 v56, v57, v56
	v_fma_f16 v57, v21, s16, -v120
	v_add_f16_e32 v132, v135, v132
	v_mul_f16_e32 v135, 0x3bb2, v27
	v_add_f16_e32 v56, v57, v56
	v_fma_f16 v57, v17, s22, -v121
	v_fma_f16 v136, v7, s21, v135
	v_add_f16_e32 v56, v57, v56
	v_fma_f16 v57, v31, s15, v122
	v_add_f16_e32 v132, v136, v132
	v_mul_f16_e32 v136, 0x3964, v28
	v_add_f16_e32 v57, v6, v57
	v_fma_f16 v58, v30, s23, v124
	v_fma_f16 v137, v18, s22, v136
	v_add_f16_e32 v57, v58, v57
	v_fma_f16 v58, v29, s21, v125
	v_add_f16_e32 v132, v137, v132
	v_mul_f16_e32 v137, 0xb5c8, v33
	v_add_f16_e32 v57, v58, v57
	v_fma_f16 v58, v32, s20, v126
	;; [unrolled: 7-line block ×4, first 2 shown]
	v_fma_f16 v140, v39, s7, v139
	v_add_f16_e32 v57, v58, v57
	v_fma_f16 v58, v41, s14, -v131
	v_add_f16_e32 v132, v140, v132
	v_mul_f16_sdwa v140, v24, s33 dst_sel:DWORD dst_unused:UNUSED_PAD src0_sel:WORD_1 src1_sel:DWORD
	v_add_f16_sdwa v58, v6, v58 dst_sel:DWORD dst_unused:UNUSED_PAD src0_sel:WORD_1 src1_sel:DWORD
	v_fma_f16 v59, v42, s16, -v133
	v_fma_f16 v141, v31, s14, -v140
	v_mul_f16_sdwa v142, v25, s28 dst_sel:DWORD dst_unused:UNUSED_PAD src0_sel:WORD_1 src1_sel:DWORD
	v_add_f16_e32 v58, v59, v58
	v_fma_f16 v59, v43, s23, -v134
	v_add_f16_e32 v141, v6, v141
	v_fma_f16 v143, v30, s16, -v142
	s_movk_i32 s25, 0x31e1
	v_add_f16_e32 v58, v59, v58
	v_fma_f16 v59, v7, s21, -v135
	v_add_f16_e32 v141, v143, v141
	v_mul_f16_sdwa v143, v26, s25 dst_sel:DWORD dst_unused:UNUSED_PAD src0_sel:WORD_1 src1_sel:DWORD
	v_add_f16_e32 v58, v59, v58
	v_fma_f16 v59, v18, s22, -v136
	v_fma_f16 v144, v29, s23, -v143
	v_add_f16_e32 v58, v59, v58
	v_fma_f16 v59, v61, s20, -v137
	v_add_f16_e32 v141, v144, v141
	v_mul_f16_sdwa v144, v27, s34 dst_sel:DWORD dst_unused:UNUSED_PAD src0_sel:WORD_1 src1_sel:DWORD
	v_add_f16_e32 v58, v59, v58
	v_fma_f16 v59, v31, s14, v140
	v_fma_f16 v41, v41, s22, -v44
	v_fma_f16 v9, v31, s20, v9
	v_fma_f16 v145, v32, s21, -v144
	v_add_f16_e32 v59, v6, v59
	v_add_f16_sdwa v41, v6, v41 dst_sel:DWORD dst_unused:UNUSED_PAD src0_sel:WORD_1 src1_sel:DWORD
	v_add_f16_e32 v9, v6, v9
	v_pk_add_f16 v6, v6, v10
	v_add_f16_e32 v141, v145, v141
	v_mul_f16_sdwa v145, v28, s18 dst_sel:DWORD dst_unused:UNUSED_PAD src0_sel:WORD_1 src1_sel:DWORD
	v_pk_add_f16 v6, v12, v6
	v_fma_f16 v146, v34, s22, -v145
	v_pk_add_f16 v6, v45, v6
	v_add_f16_e32 v141, v146, v141
	v_mul_f16_sdwa v146, v33, s26 dst_sel:DWORD dst_unused:UNUSED_PAD src0_sel:WORD_1 src1_sel:DWORD
	v_pk_add_f16 v6, v46, v6
	v_fma_f16 v147, v37, s20, -v146
	v_fma_f16 v20, v42, s15, -v20
	v_pk_add_f16 v6, v47, v6
	v_add_f16_e32 v141, v147, v141
	v_mul_f16_sdwa v147, v36, s24 dst_sel:DWORD dst_unused:UNUSED_PAD src0_sel:WORD_1 src1_sel:DWORD
	v_add_f16_e32 v20, v20, v41
	v_fma_f16 v19, v43, s16, -v19
	v_pk_add_f16 v6, v48, v6
	v_fma_f16 v148, v38, s15, -v147
	v_add_f16_e32 v19, v19, v20
	v_fma_f16 v7, v7, s23, -v15
	v_pk_add_f16 v6, v49, v6
	v_add_f16_e32 v141, v148, v141
	v_mul_f16_sdwa v148, v39, s7 dst_sel:DWORD dst_unused:UNUSED_PAD src0_sel:WORD_1 src1_sel:DWORD
	v_add_f16_e32 v7, v7, v19
	v_fma_f16 v15, v18, s9, -v16
	v_pk_add_f16 v8, v8, v35
	v_pk_add_f16 v6, v50, v6
	v_fma_f16 v149, v40, s9, -v148
	v_add_f16_e32 v7, v15, v7
	v_fma_f16 v13, v61, s21, -v13
	ds_write2_b32 v74, v8, v6 offset1:7
	v_pk_mul_f16 v6, v31, s23 op_sel_hi:[1,0]
	v_add_f16_e32 v141, v149, v141
	v_add_f16_e32 v7, v13, v7
	v_fma_f16 v11, v21, s14, -v11
	v_pk_fma_f16 v8, v24, s17, v6 op_sel:[0,0,1] op_sel_hi:[1,0,0] neg_lo:[1,0,0] neg_hi:[1,0,0]
	v_pk_mul_f16 v10, v30, s20 op_sel_hi:[1,0]
	v_add_f16_e32 v7, v11, v7
	v_fma_f16 v11, v17, s20, -v14
	v_pack_b32_f16 v17, v123, v114
	v_pack_b32_f16 v18, v141, v132
	v_pk_add_f16 v8, v73, v8
	v_pk_fma_f16 v12, v25, s31, v10 op_sel:[0,0,1] op_sel_hi:[1,0,0] neg_lo:[1,0,0] neg_hi:[1,0,0]
	ds_write2_b32 v74, v18, v17 offset0:3 offset1:4
	v_pack_b32_f16 v17, v87, v52
	v_pack_b32_f16 v18, v105, v96
	v_pk_add_f16 v8, v12, v8
	v_pk_mul_f16 v12, v29, s9 op_sel_hi:[1,0]
	ds_write2_b32 v74, v18, v17 offset0:5 offset1:6
	v_pk_fma_f16 v17, v26, s7, v12 op_sel:[0,0,1] op_sel_hi:[1,0,0] neg_lo:[1,0,0] neg_hi:[1,0,0]
	v_pk_add_f16 v8, v17, v8
	v_pk_mul_f16 v17, v32, s22 op_sel_hi:[1,0]
	v_pk_fma_f16 v18, v27, s18, v17 op_sel:[0,0,1] op_sel_hi:[1,0,0] neg_lo:[1,0,0] neg_hi:[1,0,0]
	v_pk_add_f16 v8, v18, v8
	v_pk_mul_f16 v18, v34, s16 op_sel_hi:[1,0]
	v_pk_fma_f16 v6, v24, s17, v6 op_sel:[0,0,1] op_sel_hi:[1,0,0]
	v_pk_fma_f16 v19, v28, s28, v18 op_sel:[0,0,1] op_sel_hi:[1,0,0] neg_lo:[1,0,0] neg_hi:[1,0,0]
	v_pk_add_f16 v6, v73, v6
	v_pk_fma_f16 v10, v25, s31, v10 op_sel:[0,0,1] op_sel_hi:[1,0,0]
	v_pk_add_f16 v8, v19, v8
	v_pk_mul_f16 v19, v37, s14 op_sel_hi:[1,0]
	v_pk_add_f16 v6, v10, v6
	v_pk_fma_f16 v10, v26, s7, v12 op_sel:[0,0,1] op_sel_hi:[1,0,0]
	v_pk_fma_f16 v20, v33, s8, v19 op_sel:[0,0,1] op_sel_hi:[1,0,0] neg_lo:[1,0,0] neg_hi:[1,0,0]
	v_pk_add_f16 v6, v10, v6
	v_pk_fma_f16 v10, v27, s18, v17 op_sel:[0,0,1] op_sel_hi:[1,0,0]
	v_fma_f16 v15, v30, s22, v62
	v_pk_add_f16 v8, v20, v8
	v_pk_mul_f16 v20, v38, s21 op_sel_hi:[1,0]
	v_pk_add_f16 v6, v10, v6
	v_pk_fma_f16 v10, v28, s28, v18 op_sel:[0,0,1] op_sel_hi:[1,0,0]
	v_fma_f16 v13, v21, s15, -v138
	v_add_f16_e32 v9, v15, v9
	v_fma_f16 v15, v29, s14, v63
	v_pk_fma_f16 v21, v36, s19, v20 op_sel:[0,0,1] op_sel_hi:[1,0,0] neg_lo:[1,0,0] neg_hi:[1,0,0]
	v_pk_add_f16 v6, v10, v6
	v_pk_fma_f16 v10, v33, s8, v19 op_sel:[0,0,1] op_sel_hi:[1,0,0]
	v_fma_f16 v60, v30, s16, v142
	v_add_f16_e32 v7, v11, v7
	v_pk_add_f16 v11, v73, v70
	v_add_f16_e32 v9, v15, v9
	v_fma_f16 v15, v32, s15, v64
	v_pk_add_f16 v8, v21, v8
	v_pk_mul_f16 v21, v40, s15 op_sel_hi:[1,0]
	v_pk_add_f16 v6, v10, v6
	v_pk_fma_f16 v10, v36, s19, v20 op_sel:[0,0,1] op_sel_hi:[1,0,0]
	v_add_f16_e32 v59, v60, v59
	v_fma_f16 v60, v29, s23, v143
	v_pk_add_f16 v11, v72, v11
	v_add_f16_e32 v9, v15, v9
	v_fma_f16 v15, v34, s21, v65
	v_pk_fma_f16 v29, v39, s30, v21 op_sel:[0,0,1] op_sel_hi:[1,0,0] neg_lo:[1,0,0] neg_hi:[1,0,0]
	v_pk_add_f16 v6, v10, v6
	v_pk_fma_f16 v10, v39, s30, v21 op_sel:[0,0,1] op_sel_hi:[1,0,0]
	v_pk_add_f16 v11, v76, v11
	v_add_f16_e32 v9, v15, v9
	v_fma_f16 v15, v37, s16, v66
	v_pk_add_f16 v8, v29, v8
	v_pk_add_f16 v6, v10, v6
	;; [unrolled: 1-line block ×3, first 2 shown]
	v_add_f16_e32 v9, v15, v9
	v_fma_f16 v15, v38, s9, v67
	v_alignbit_b32 v10, v8, v6, 16
	v_alignbit_b32 v6, v6, v8, 16
	v_pk_add_f16 v11, v80, v11
	v_add_f16_e32 v14, v73, v69
	v_add_f16_e32 v9, v15, v9
	v_fma_f16 v15, v40, s23, v68
	ds_write2_b32 v74, v6, v10 offset0:8 offset1:9
	v_pack_b32_f16 v6, v53, v51
	v_perm_b32 v8, v23, v22, s6
	v_add_f16_e32 v59, v60, v59
	v_fma_f16 v60, v32, s21, v144
	v_pk_add_f16 v11, v82, v11
	v_add_f16_e32 v14, v71, v14
	v_add_f16_e32 v9, v15, v9
	v_mul_f16_e32 v15, 0xb836, v39
	ds_write2_b32 v74, v8, v6 offset0:10 offset1:11
	v_pack_b32_f16 v6, v57, v56
	v_pack_b32_f16 v8, v55, v54
	v_add_f16_e32 v59, v60, v59
	v_fma_f16 v60, v34, s22, v145
	v_add_f16_e32 v14, v75, v14
	ds_write2_b32 v74, v8, v6 offset0:12 offset1:13
	v_bfi_b32 v6, s27, v15, v11
	v_add_f16_e32 v59, v60, v59
	v_fma_f16 v60, v37, s20, v146
	v_add_f16_e32 v14, v77, v14
	v_pk_mul_f16 v16, v39, s29
	v_pk_add_f16 v6, v139, v6 neg_lo:[0,1] neg_hi:[0,1]
	v_pk_add_f16 v8, v84, v11
	v_add_f16_e32 v59, v60, v59
	v_fma_f16 v60, v38, s15, v147
	v_add_f16_e32 v14, v79, v14
	v_bfi_b32 v6, s27, v6, v8
	v_pack_b32_f16 v8, v13, v85
	v_bfi_b32 v10, s27, v58, v16
	v_add_f16_e32 v59, v60, v59
	v_fma_f16 v60, v40, s9, v148
	v_add_f16_e32 v14, v81, v14
	v_pk_add_f16 v8, v8, v10
	v_add_f16_e32 v59, v60, v59
	v_add_f16_e32 v14, v83, v14
	v_pk_add_f16 v6, v6, v8
	v_add_f16_e32 v14, v86, v14
	v_alignbit_b32 v7, v7, v6, 16
	v_pack_b32_f16 v6, v59, v6
	ds_write2_b32 v74, v6, v7 offset0:14 offset1:15
	v_pack_b32_f16 v6, v9, v14
	ds_write_b32 v74, v6 offset:64
.LBB0_21:
	s_or_b64 exec, exec, s[4:5]
	s_movk_i32 s4, 0xf1
	v_mul_lo_u16_sdwa v6, v5, s4 dst_sel:DWORD dst_unused:UNUSED_PAD src0_sel:BYTE_0 src1_sel:DWORD
	v_lshrrev_b16_e32 v28, 12, v6
	v_mul_lo_u16_e32 v6, 17, v28
	v_sub_u16_e32 v29, v5, v6
	v_mov_b32_e32 v6, 9
	v_mul_u32_u24_sdwa v6, v29, v6 dst_sel:DWORD dst_unused:UNUSED_PAD src0_sel:BYTE_0 src1_sel:DWORD
	v_lshlrev_b32_e32 v14, 2, v6
	s_waitcnt lgkmcnt(0)
	s_barrier
	global_load_dwordx4 v[6:9], v14, s[12:13]
	global_load_dwordx4 v[10:13], v14, s[12:13] offset:16
	global_load_dword v26, v14, s[12:13] offset:32
	v_add_u32_e32 v16, 0x500, v0
	v_add_u32_e32 v20, 0xb00, v0
	;; [unrolled: 1-line block ×4, first 2 shown]
	ds_read2_b32 v[14:15], v0 offset1:187
	ds_read2_b32 v[16:17], v16 offset0:54 offset1:241
	ds_read2_b32 v[18:19], v18 offset0:34 offset1:221
	;; [unrolled: 1-line block ×4, first 2 shown]
	s_movk_i32 s4, 0x3b9c
	s_waitcnt lgkmcnt(3)
	v_lshrrev_b32_e32 v35, 16, v16
	s_waitcnt lgkmcnt(2)
	v_lshrrev_b32_e32 v31, 16, v18
	;; [unrolled: 2-line block ×4, first 2 shown]
	v_lshrrev_b32_e32 v32, 16, v19
	v_lshrrev_b32_e32 v34, 16, v25
	;; [unrolled: 1-line block ×4, first 2 shown]
	s_mov_b32 s7, 0xbb9c
	s_movk_i32 s5, 0x38b4
	s_mov_b32 s8, 0xb8b4
	v_lshrrev_b32_e32 v27, 16, v14
	s_movk_i32 s6, 0x34f2
	v_lshrrev_b32_e32 v38, 16, v21
	s_movk_i32 s9, 0x3a79
	v_mul_u32_u24_e32 v28, 0x2a8, v28
	s_waitcnt vmcnt(0)
	s_barrier
	v_mul_f16_sdwa v45, v9, v37 dst_sel:DWORD dst_unused:UNUSED_PAD src0_sel:WORD_1 src1_sel:DWORD
	v_mul_f16_sdwa v49, v31, v11 dst_sel:DWORD dst_unused:UNUSED_PAD src0_sel:DWORD src1_sel:WORD_1
	v_mul_f16_sdwa v41, v7, v35 dst_sel:DWORD dst_unused:UNUSED_PAD src0_sel:WORD_1 src1_sel:DWORD
	v_mul_f16_sdwa v42, v7, v16 dst_sel:DWORD dst_unused:UNUSED_PAD src0_sel:WORD_1 src1_sel:DWORD
	;; [unrolled: 1-line block ×3, first 2 shown]
	v_mul_f16_sdwa v50, v18, v11 dst_sel:DWORD dst_unused:UNUSED_PAD src0_sel:DWORD src1_sel:WORD_1
	v_mul_f16_sdwa v53, v33, v13 dst_sel:DWORD dst_unused:UNUSED_PAD src0_sel:DWORD src1_sel:WORD_1
	;; [unrolled: 1-line block ×3, first 2 shown]
	v_fma_f16 v20, v9, v20, -v45
	v_fma_f16 v18, v18, v11, -v49
	v_mul_f16_sdwa v43, v8, v36 dst_sel:DWORD dst_unused:UNUSED_PAD src0_sel:WORD_1 src1_sel:DWORD
	v_mul_f16_sdwa v44, v8, v17 dst_sel:DWORD dst_unused:UNUSED_PAD src0_sel:WORD_1 src1_sel:DWORD
	v_mul_f16_sdwa v51, v32, v12 dst_sel:DWORD dst_unused:UNUSED_PAD src0_sel:DWORD src1_sel:WORD_1
	v_mul_f16_sdwa v52, v19, v12 dst_sel:DWORD dst_unused:UNUSED_PAD src0_sel:DWORD src1_sel:WORD_1
	v_mul_f16_sdwa v55, v34, v26 dst_sel:DWORD dst_unused:UNUSED_PAD src0_sel:DWORD src1_sel:WORD_1
	v_mul_f16_sdwa v56, v25, v26 dst_sel:DWORD dst_unused:UNUSED_PAD src0_sel:DWORD src1_sel:WORD_1
	v_fma_f16 v16, v7, v16, -v41
	v_fma_f16 v7, v7, v35, v42
	v_fma_f16 v11, v31, v11, v50
	v_fma_f16 v24, v24, v13, -v53
	v_fma_f16 v13, v33, v13, v54
	v_add_f16_e32 v31, v20, v18
	v_mul_f16_sdwa v39, v6, v30 dst_sel:DWORD dst_unused:UNUSED_PAD src0_sel:WORD_1 src1_sel:DWORD
	v_mul_f16_sdwa v40, v6, v15 dst_sel:DWORD dst_unused:UNUSED_PAD src0_sel:WORD_1 src1_sel:DWORD
	v_fma_f16 v17, v8, v17, -v43
	v_fma_f16 v8, v8, v36, v44
	v_fma_f16 v9, v9, v37, v46
	v_fma_f16 v19, v19, v12, -v51
	v_fma_f16 v12, v32, v12, v52
	v_fma_f16 v25, v25, v26, -v55
	v_fma_f16 v26, v34, v26, v56
	v_sub_f16_e32 v32, v7, v13
	v_sub_f16_e32 v34, v16, v20
	;; [unrolled: 1-line block ×3, first 2 shown]
	v_add_f16_e32 v36, v16, v24
	v_fma_f16 v31, v31, -0.5, v14
	v_fma_f16 v15, v6, v15, -v39
	v_fma_f16 v6, v6, v30, v40
	v_add_f16_e32 v30, v14, v16
	v_sub_f16_e32 v33, v9, v11
	v_add_f16_e32 v34, v34, v35
	v_fma_f16 v14, v36, -0.5, v14
	v_fma_f16 v35, v32, s4, v31
	v_fma_f16 v31, v32, s7, v31
	v_add_f16_e32 v30, v30, v20
	v_fma_f16 v36, v33, s7, v14
	v_fma_f16 v35, v33, s5, v35
	;; [unrolled: 1-line block ×4, first 2 shown]
	v_add_f16_e32 v33, v9, v11
	v_add_f16_e32 v30, v30, v18
	v_fma_f16 v35, v34, s6, v35
	v_fma_f16 v31, v34, s6, v31
	;; [unrolled: 1-line block ×3, first 2 shown]
	v_sub_f16_e32 v36, v20, v16
	v_sub_f16_e32 v37, v18, v24
	v_fma_f16 v33, v33, -0.5, v27
	v_sub_f16_e32 v16, v16, v24
	v_add_f16_e32 v30, v30, v24
	v_add_f16_e32 v36, v36, v37
	v_fma_f16 v14, v32, s8, v14
	v_fma_f16 v24, v16, s7, v33
	v_sub_f16_e32 v18, v20, v18
	v_fma_f16 v34, v36, s6, v34
	v_fma_f16 v14, v36, s6, v14
	;; [unrolled: 1-line block ×3, first 2 shown]
	v_sub_f16_e32 v24, v7, v9
	v_sub_f16_e32 v36, v13, v11
	v_fma_f16 v33, v16, s4, v33
	v_add_f16_e32 v24, v24, v36
	v_fma_f16 v33, v18, s5, v33
	v_add_f16_e32 v32, v27, v7
	v_fma_f16 v20, v24, s6, v20
	v_fma_f16 v24, v24, s6, v33
	v_add_f16_e32 v33, v7, v13
	v_add_f16_e32 v32, v32, v9
	v_fma_f16 v27, v33, -0.5, v27
	v_sub_f16_e32 v7, v9, v7
	v_sub_f16_e32 v9, v11, v13
	v_fma_f16 v33, v18, s4, v27
	v_add_f16_e32 v7, v7, v9
	v_fma_f16 v9, v18, s7, v27
	v_mul_f16_sdwa v47, v10, v38 dst_sel:DWORD dst_unused:UNUSED_PAD src0_sel:WORD_1 src1_sel:DWORD
	v_fma_f16 v33, v16, s8, v33
	v_fma_f16 v9, v16, s5, v9
	v_mul_f16_sdwa v48, v10, v21 dst_sel:DWORD dst_unused:UNUSED_PAD src0_sel:WORD_1 src1_sel:DWORD
	v_fma_f16 v21, v10, v21, -v47
	v_fma_f16 v33, v7, s6, v33
	v_fma_f16 v36, v7, s6, v9
	v_add_f16_e32 v7, v15, v17
	v_add_f16_e32 v7, v7, v21
	;; [unrolled: 1-line block ×6, first 2 shown]
	v_fma_f16 v10, v10, v38, v48
	v_fma_f16 v7, v7, -0.5, v15
	v_sub_f16_e32 v9, v8, v26
	v_add_f16_e32 v32, v32, v13
	v_fma_f16 v13, v9, s4, v7
	v_sub_f16_e32 v16, v10, v12
	v_sub_f16_e32 v18, v17, v21
	v_sub_f16_e32 v27, v25, v19
	v_fma_f16 v7, v9, s7, v7
	v_add_f16_e32 v18, v18, v27
	v_fma_f16 v7, v16, s8, v7
	v_fma_f16 v27, v18, s6, v7
	v_add_f16_e32 v7, v17, v25
	v_fma_f16 v13, v16, s5, v13
	v_fma_f16 v7, v7, -0.5, v15
	v_fma_f16 v13, v18, s6, v13
	v_fma_f16 v15, v16, s7, v7
	v_sub_f16_e32 v18, v21, v17
	v_sub_f16_e32 v37, v19, v25
	v_fma_f16 v7, v16, s4, v7
	v_add_f16_e32 v18, v18, v37
	v_fma_f16 v7, v9, s8, v7
	v_fma_f16 v37, v18, s6, v7
	v_add_f16_e32 v7, v6, v8
	v_add_f16_e32 v7, v7, v10
	;; [unrolled: 1-line block ×5, first 2 shown]
	v_fma_f16 v15, v9, s5, v15
	v_fma_f16 v7, v7, -0.5, v6
	v_sub_f16_e32 v9, v17, v25
	v_fma_f16 v15, v18, s6, v15
	v_fma_f16 v16, v9, s7, v7
	v_sub_f16_e32 v17, v21, v19
	v_sub_f16_e32 v18, v8, v10
	;; [unrolled: 1-line block ×3, first 2 shown]
	v_fma_f16 v7, v9, s4, v7
	v_add_f16_e32 v18, v18, v19
	v_fma_f16 v7, v17, s5, v7
	v_fma_f16 v21, v18, s6, v7
	v_add_f16_e32 v7, v8, v26
	v_fma_f16 v6, v7, -0.5, v6
	v_fma_f16 v16, v17, s8, v16
	v_fma_f16 v7, v17, s4, v6
	v_sub_f16_e32 v8, v10, v8
	v_sub_f16_e32 v10, v12, v26
	v_fma_f16 v19, v18, s6, v16
	v_fma_f16 v7, v9, s8, v7
	v_add_f16_e32 v8, v8, v10
	v_fma_f16 v12, v8, s6, v7
	v_fma_f16 v6, v17, s7, v6
	v_mul_f16_e32 v7, 0x38b4, v19
	v_fma_f16 v6, v9, s5, v6
	v_fma_f16 v26, v13, s9, v7
	v_mul_f16_e32 v13, 0xb8b4, v13
	;; [unrolled: 3-line block ×3, first 2 shown]
	v_add_f16_e32 v6, v30, v11
	v_mul_f16_e32 v8, 0x3b9c, v12
	v_mul_f16_e32 v9, 0x34f2, v37
	v_fma_f16 v43, v12, s6, v13
	v_mul_f16_e32 v12, 0x34f2, v25
	v_sub_f16_e32 v11, v30, v11
	v_mov_b32_e32 v30, 2
	v_add_f16_e32 v7, v35, v26
	v_fma_f16 v39, v15, s6, v8
	v_fma_f16 v40, v25, s4, -v9
	v_mul_f16_e32 v10, 0x3a79, v27
	v_add_f16_e32 v16, v32, v38
	v_add_f16_e32 v17, v20, v42
	v_fma_f16 v37, v37, s7, -v12
	v_mul_f16_e32 v12, 0x3a79, v21
	v_lshlrev_b32_sdwa v29, v30, v29 dst_sel:DWORD dst_unused:UNUSED_PAD src0_sel:DWORD src1_sel:BYTE_0
	v_add_f16_e32 v8, v34, v39
	v_add_f16_e32 v9, v14, v40
	v_fma_f16 v41, v21, s5, -v10
	v_add_f16_e32 v18, v33, v43
	v_add_f16_e32 v19, v36, v37
	v_fma_f16 v44, v27, s8, -v12
	v_add3_u32 v28, 0, v28, v29
	v_pack_b32_f16 v29, v6, v16
	v_pack_b32_f16 v30, v7, v17
	v_add_f16_e32 v10, v31, v41
	v_add_f16_e32 v21, v24, v44
	v_sub_f16_e32 v25, v32, v38
	ds_write2_b32 v28, v29, v30 offset1:17
	v_pack_b32_f16 v29, v8, v18
	v_pack_b32_f16 v30, v9, v19
	v_sub_f16_e32 v12, v35, v26
	v_sub_f16_e32 v13, v34, v39
	;; [unrolled: 1-line block ×4, first 2 shown]
	ds_write2_b32 v28, v29, v30 offset0:34 offset1:51
	v_pack_b32_f16 v29, v10, v21
	v_pack_b32_f16 v30, v11, v25
	v_sub_f16_e32 v14, v14, v40
	v_sub_f16_e32 v15, v31, v41
	;; [unrolled: 1-line block ×4, first 2 shown]
	ds_write2_b32 v28, v29, v30 offset0:68 offset1:85
	v_pack_b32_f16 v29, v12, v26
	v_pack_b32_f16 v30, v13, v27
	s_movk_i32 s4, 0xaa
	ds_write2_b32 v28, v29, v30 offset0:102 offset1:119
	v_pack_b32_f16 v29, v14, v20
	v_pack_b32_f16 v30, v15, v24
	v_cmp_gt_u32_e32 vcc, s4, v5
	ds_write2_b32 v28, v29, v30 offset0:136 offset1:153
	s_waitcnt lgkmcnt(0)
	s_barrier
	s_and_saveexec_b64 s[4:5], vcc
	s_cbranch_execz .LBB0_23
; %bb.22:
	v_add_u32_e32 v8, 0x400, v0
	v_add_u32_e32 v10, 0xa00, v0
	;; [unrolled: 1-line block ×4, first 2 shown]
	ds_read2_b32 v[6:7], v0 offset1:170
	ds_read2_b32 v[8:9], v8 offset0:84 offset1:254
	ds_read2_b32 v[14:15], v11 offset0:80 offset1:250
	ds_read2_b32 v[10:11], v10 offset0:40 offset1:210
	ds_read_b32 v22, v0 offset:6800
	ds_read2_b32 v[12:13], v12 offset0:60 offset1:230
	s_waitcnt lgkmcnt(5)
	v_lshrrev_b32_e32 v16, 16, v6
	s_waitcnt lgkmcnt(3)
	v_lshrrev_b32_e32 v20, 16, v14
	v_lshrrev_b32_e32 v24, 16, v15
	s_waitcnt lgkmcnt(1)
	v_lshrrev_b32_e32 v23, 16, v22
	v_lshrrev_b32_e32 v17, 16, v7
	;; [unrolled: 1-line block ×6, first 2 shown]
	s_waitcnt lgkmcnt(0)
	v_lshrrev_b32_e32 v26, 16, v12
	v_lshrrev_b32_e32 v27, 16, v13
.LBB0_23:
	s_or_b64 exec, exec, s[4:5]
	s_barrier
	s_and_saveexec_b64 s[4:5], vcc
	s_cbranch_execz .LBB0_25
; %bb.24:
	v_add_u32_e32 v28, 0xffffff56, v5
	v_cndmask_b32_e32 v28, v28, v5, vcc
	v_mul_i32_i24_e32 v28, 10, v28
	v_mov_b32_e32 v29, 0
	v_lshlrev_b64 v[28:29], 2, v[28:29]
	v_mov_b32_e32 v30, s13
	v_add_co_u32_e32 v36, vcc, s12, v28
	v_addc_co_u32_e32 v37, vcc, v30, v29, vcc
	global_load_dwordx2 v[38:39], v[36:37], off offset:644
	global_load_dwordx4 v[28:31], v[36:37], off offset:612
	global_load_dwordx4 v[32:35], v[36:37], off offset:628
	s_movk_i32 s13, 0x3beb
	s_mov_b32 s14, 0xb482
	s_mov_b32 s16, 0xbb47
	s_movk_i32 s17, 0x3853
	s_mov_b32 s6, 0xb08e
	s_movk_i32 s18, 0x3a0c
	;; [unrolled: 2-line block ×3, first 2 shown]
	s_movk_i32 s9, 0x3abb
	s_mov_b32 s15, 0xbbeb
	s_mov_b32 s12, 0xb93d
	s_movk_i32 s19, 0x3482
	s_movk_i32 s20, 0x3b47
	s_mov_b32 s21, 0xb853
	s_mov_b32 s22, 0xba0c
	s_waitcnt vmcnt(2)
	v_mul_f16_sdwa v36, v22, v39 dst_sel:DWORD dst_unused:UNUSED_PAD src0_sel:DWORD src1_sel:WORD_1
	s_waitcnt vmcnt(1)
	v_mul_f16_sdwa v37, v7, v28 dst_sel:DWORD dst_unused:UNUSED_PAD src0_sel:DWORD src1_sel:WORD_1
	v_mul_f16_sdwa v40, v17, v28 dst_sel:DWORD dst_unused:UNUSED_PAD src0_sel:DWORD src1_sel:WORD_1
	;; [unrolled: 1-line block ×5, first 2 shown]
	v_fma_f16 v23, v23, v39, v36
	v_fma_f16 v17, v17, v28, v37
	v_mul_f16_sdwa v44, v18, v29 dst_sel:DWORD dst_unused:UNUSED_PAD src0_sel:DWORD src1_sel:WORD_1
	v_mul_f16_sdwa v45, v24, v38 dst_sel:DWORD dst_unused:UNUSED_PAD src0_sel:DWORD src1_sel:WORD_1
	s_waitcnt vmcnt(0)
	v_mul_f16_sdwa v46, v14, v35 dst_sel:DWORD dst_unused:UNUSED_PAD src0_sel:DWORD src1_sel:WORD_1
	v_mul_f16_sdwa v47, v9, v30 dst_sel:DWORD dst_unused:UNUSED_PAD src0_sel:DWORD src1_sel:WORD_1
	;; [unrolled: 1-line block ×3, first 2 shown]
	v_fma_f16 v7, v7, v28, -v40
	v_fma_f16 v22, v22, v39, -v41
	v_fma_f16 v24, v24, v38, v42
	v_fma_f16 v18, v18, v29, v43
	v_add_f16_e32 v28, v17, v23
	v_mul_f16_sdwa v49, v20, v35 dst_sel:DWORD dst_unused:UNUSED_PAD src0_sel:DWORD src1_sel:WORD_1
	v_mul_f16_sdwa v50, v13, v34 dst_sel:DWORD dst_unused:UNUSED_PAD src0_sel:DWORD src1_sel:WORD_1
	;; [unrolled: 1-line block ×6, first 2 shown]
	v_fma_f16 v8, v8, v29, -v44
	v_fma_f16 v15, v15, v38, -v45
	v_fma_f16 v20, v20, v35, v46
	v_fma_f16 v19, v19, v30, v47
	v_fma_f16 v9, v9, v30, -v48
	v_sub_f16_e32 v29, v7, v22
	v_add_f16_e32 v30, v18, v24
	v_mul_f16_e32 v42, 0xb08e, v28
	v_mul_f16_sdwa v53, v27, v34 dst_sel:DWORD dst_unused:UNUSED_PAD src0_sel:DWORD src1_sel:WORD_1
	v_mul_f16_sdwa v54, v12, v33 dst_sel:DWORD dst_unused:UNUSED_PAD src0_sel:DWORD src1_sel:WORD_1
	;; [unrolled: 1-line block ×3, first 2 shown]
	v_fma_f16 v14, v14, v35, -v49
	v_fma_f16 v27, v27, v34, v50
	v_fma_f16 v21, v21, v31, v51
	v_fma_f16 v10, v10, v31, -v52
	v_fma_f16 v25, v25, v32, v55
	v_fma_f16 v11, v11, v32, -v56
	v_sub_f16_e32 v31, v8, v15
	v_add_f16_e32 v32, v19, v20
	v_mul_f16_e32 v43, 0xbbad, v30
	v_fma_f16 v48, v29, s13, v42
	v_fma_f16 v13, v13, v34, -v53
	v_fma_f16 v26, v26, v33, v54
	v_fma_f16 v12, v12, v33, -v57
	v_sub_f16_e32 v33, v9, v14
	v_add_f16_e32 v34, v21, v27
	v_mul_f16_e32 v44, 0x36a6, v32
	v_fma_f16 v49, v31, s14, v43
	v_add_f16_e32 v48, v16, v48
	v_sub_f16_e32 v35, v10, v13
	v_add_f16_e32 v36, v25, v26
	v_sub_f16_e32 v39, v17, v23
	v_mul_f16_e32 v45, 0x3abb, v34
	v_fma_f16 v50, v33, s16, v44
	v_add_f16_e32 v48, v49, v48
	v_sub_f16_e32 v37, v11, v12
	v_add_f16_e32 v38, v7, v22
	v_sub_f16_e32 v41, v18, v24
	v_mul_f16_e32 v46, 0xb93d, v36
	v_mul_f16_e32 v47, 0xbbeb, v39
	v_fma_f16 v51, v35, s17, v45
	v_add_f16_e32 v48, v50, v48
	v_add_f16_e32 v40, v8, v15
	v_fma_f16 v52, v37, s18, v46
	v_fma_f16 v53, v38, s6, v47
	v_add_f16_e32 v48, v51, v48
	v_mul_f16_e32 v49, 0x3482, v41
	v_add_f16_e32 v53, v6, v53
	v_add_f16_e32 v48, v52, v48
	v_fma_f16 v50, v40, s7, v49
	v_sub_f16_e32 v52, v19, v20
	v_add_f16_e32 v50, v50, v53
	v_add_f16_e32 v51, v9, v14
	v_mul_f16_e32 v53, 0x3b47, v52
	v_fma_f16 v54, v51, s8, v53
	v_sub_f16_e32 v55, v21, v27
	v_add_f16_e32 v50, v54, v50
	v_add_f16_e32 v54, v10, v13
	v_mul_f16_e32 v56, 0xb853, v55
	;; [unrolled: 5-line block ×3, first 2 shown]
	v_fma_f16 v42, v29, s15, v42
	v_fma_f16 v60, v57, s12, v59
	v_add_f16_e32 v42, v16, v42
	v_fma_f16 v43, v31, s19, v43
	v_add_f16_e32 v50, v60, v50
	v_mul_f16_e32 v60, 0xb93d, v28
	v_add_f16_e32 v42, v43, v42
	v_fma_f16 v43, v33, s20, v44
	v_fma_f16 v61, v29, s18, v60
	v_mul_f16_e32 v62, 0xb08e, v30
	v_add_f16_e32 v42, v43, v42
	v_fma_f16 v43, v35, s21, v45
	v_add_f16_e32 v61, v16, v61
	v_fma_f16 v63, v31, s15, v62
	;; [unrolled: 2-line block ×3, first 2 shown]
	v_add_f16_e32 v61, v63, v61
	v_mul_f16_e32 v63, 0x3abb, v32
	v_add_f16_e32 v42, v43, v42
	v_fma_f16 v43, v38, s6, -v47
	v_fma_f16 v64, v33, s17, v63
	v_add_f16_e32 v43, v6, v43
	v_fma_f16 v44, v40, s7, -v49
	v_add_f16_e32 v61, v64, v61
	v_mul_f16_e32 v64, 0xbbad, v34
	v_add_f16_e32 v43, v44, v43
	v_fma_f16 v44, v51, s8, -v53
	v_fma_f16 v65, v35, s19, v64
	v_add_f16_e32 v43, v44, v43
	v_fma_f16 v44, v54, s9, -v56
	v_add_f16_e32 v61, v65, v61
	v_mul_f16_e32 v65, 0x36a6, v36
	v_add_f16_e32 v43, v44, v43
	v_fma_f16 v44, v57, s12, -v59
	v_fma_f16 v66, v37, s16, v65
	v_fma_f16 v60, v29, s22, v60
	v_add_f16_e32 v43, v44, v43
	v_mul_f16_e32 v44, 0xbb47, v29
	v_add_f16_e32 v61, v66, v61
	v_mul_f16_e32 v66, 0xba0c, v39
	v_add_f16_e32 v60, v16, v60
	v_fma_f16 v62, v31, s13, v62
	v_fma_f16 v45, v28, s8, v44
	v_mul_f16_e32 v46, 0xba0c, v31
	v_fma_f16 v67, v38, s12, v66
	v_mul_f16_e32 v68, 0x3beb, v41
	v_add_f16_e32 v60, v62, v60
	v_fma_f16 v62, v33, s21, v63
	v_add_f16_e32 v45, v16, v45
	v_fma_f16 v47, v30, s12, v46
	v_add_f16_e32 v67, v6, v67
	v_fma_f16 v69, v40, s6, v68
	v_add_f16_e32 v60, v62, v60
	v_fma_f16 v62, v35, s14, v64
	v_add_f16_e32 v45, v47, v45
	v_mul_f16_e32 v47, 0x3482, v33
	v_add_f16_e32 v67, v69, v67
	v_mul_f16_e32 v69, 0xb853, v52
	v_add_f16_e32 v60, v62, v60
	v_fma_f16 v62, v37, s20, v65
	v_fma_f16 v49, v32, s7, v47
	;; [unrolled: 1-line block ×3, first 2 shown]
	v_add_f16_e32 v60, v62, v60
	v_fma_f16 v62, v38, s12, -v66
	v_add_f16_e32 v45, v49, v45
	v_mul_f16_e32 v49, 0x3beb, v35
	v_add_f16_e32 v67, v70, v67
	v_mul_f16_e32 v70, 0xb482, v55
	v_add_f16_e32 v62, v6, v62
	v_fma_f16 v63, v40, s6, -v68
	v_fma_f16 v53, v34, s6, v49
	v_fma_f16 v71, v54, s7, v70
	v_add_f16_e32 v62, v63, v62
	v_fma_f16 v63, v51, s9, -v69
	v_add_f16_e32 v45, v53, v45
	v_mul_f16_e32 v53, 0x3853, v37
	v_add_f16_e32 v67, v71, v67
	v_mul_f16_e32 v71, 0x3b47, v58
	v_add_f16_e32 v62, v63, v62
	v_fma_f16 v63, v54, s7, -v70
	v_fma_f16 v56, v36, s9, v53
	v_add_f16_e32 v7, v6, v7
	v_fma_f16 v72, v57, s8, v71
	v_add_f16_e32 v62, v63, v62
	v_fma_f16 v63, v57, s8, -v71
	v_add_f16_e32 v45, v56, v45
	v_mul_f16_e32 v56, 0xbb47, v39
	v_add_f16_e32 v7, v7, v8
	v_add_f16_e32 v67, v72, v67
	v_mul_f16_e32 v72, 0xbbad, v28
	v_add_f16_e32 v62, v63, v62
	v_fma_f16 v59, v38, s8, -v56
	v_mul_f16_e32 v63, 0xba0c, v41
	v_add_f16_e32 v7, v7, v9
	v_fma_f16 v9, v28, s8, -v44
	v_fma_f16 v73, v29, s19, v72
	v_mul_f16_e32 v74, 0x3abb, v30
	v_add_f16_e32 v59, v6, v59
	v_fma_f16 v64, v40, s12, -v63
	v_add_f16_e32 v7, v7, v10
	v_add_f16_e32 v9, v16, v9
	v_fma_f16 v10, v30, s12, -v46
	v_add_f16_e32 v73, v16, v73
	v_fma_f16 v75, v31, s21, v74
	v_add_f16_e32 v59, v64, v59
	v_mul_f16_e32 v64, 0x3482, v52
	v_add_f16_e32 v9, v10, v9
	v_fma_f16 v10, v32, s7, -v47
	v_add_f16_e32 v73, v75, v73
	v_mul_f16_e32 v75, 0xb93d, v32
	v_fma_f16 v65, v51, s7, -v64
	v_add_f16_e32 v9, v10, v9
	v_fma_f16 v10, v34, s6, -v49
	v_fma_f16 v76, v33, s18, v75
	v_add_f16_e32 v59, v65, v59
	v_mul_f16_e32 v65, 0x3beb, v55
	v_add_f16_e32 v9, v10, v9
	v_fma_f16 v10, v36, s9, -v53
	v_add_f16_e32 v73, v76, v73
	v_mul_f16_e32 v76, 0x36a6, v34
	v_fma_f16 v66, v54, s6, -v65
	v_add_f16_e32 v9, v10, v9
	v_fma_f16 v10, v38, s8, v56
	v_fma_f16 v77, v35, s16, v76
	v_add_f16_e32 v59, v66, v59
	v_mul_f16_e32 v66, 0x3853, v58
	v_add_f16_e32 v7, v7, v11
	v_add_f16_e32 v10, v6, v10
	v_fma_f16 v11, v40, s12, v63
	v_add_f16_e32 v73, v77, v73
	v_mul_f16_e32 v77, 0xb08e, v36
	v_fma_f16 v72, v29, s14, v72
	v_fma_f16 v68, v57, s9, -v66
	v_mul_f16_e32 v29, 0xb853, v29
	v_add_f16_e32 v10, v11, v10
	v_fma_f16 v11, v51, s7, v64
	v_fma_f16 v78, v37, s13, v77
	v_add_f16_e32 v72, v16, v72
	v_fma_f16 v74, v31, s17, v74
	v_add_f16_e32 v59, v68, v59
	v_fma_f16 v68, v28, s9, v29
	v_mul_f16_e32 v31, 0xbb47, v31
	v_add_f16_e32 v10, v11, v10
	v_fma_f16 v11, v54, s6, v65
	v_add_f16_e32 v73, v78, v73
	v_mul_f16_e32 v78, 0xb482, v39
	v_add_f16_e32 v72, v74, v72
	v_fma_f16 v74, v33, s22, v75
	v_add_f16_e32 v68, v16, v68
	v_fma_f16 v69, v30, s8, v31
	v_mul_f16_e32 v33, 0xbbeb, v33
	v_add_f16_e32 v8, v16, v17
	v_add_f16_e32 v10, v11, v10
	v_fma_f16 v11, v57, s9, v66
	v_fma_f16 v79, v38, s7, v78
	v_mul_f16_e32 v80, 0x3853, v41
	v_add_f16_e32 v72, v74, v72
	v_fma_f16 v74, v35, s20, v76
	v_add_f16_e32 v68, v69, v68
	v_fma_f16 v69, v32, s6, v33
	v_mul_f16_e32 v35, 0xba0c, v35
	v_add_f16_e32 v8, v8, v18
	v_add_f16_e32 v10, v11, v10
	v_fma_f16 v11, v28, s9, -v29
	v_add_f16_e32 v79, v6, v79
	v_fma_f16 v81, v40, s9, v80
	v_add_f16_e32 v72, v74, v72
	v_fma_f16 v74, v37, s15, v77
	v_add_f16_e32 v68, v69, v68
	v_fma_f16 v69, v34, s12, v35
	v_mul_f16_e32 v37, 0xb482, v37
	v_add_f16_e32 v7, v7, v12
	v_add_f16_e32 v8, v8, v19
	;; [unrolled: 1-line block ×3, first 2 shown]
	v_fma_f16 v12, v30, s8, -v31
	v_add_f16_e32 v79, v81, v79
	v_mul_f16_e32 v81, 0xba0c, v52
	v_add_f16_e32 v68, v69, v68
	v_fma_f16 v69, v36, s7, v37
	v_mul_f16_e32 v39, 0xb853, v39
	v_add_f16_e32 v8, v8, v21
	v_add_f16_e32 v11, v12, v11
	v_fma_f16 v12, v32, s6, -v33
	v_fma_f16 v82, v51, s12, v81
	v_add_f16_e32 v68, v69, v68
	v_fma_f16 v69, v38, s9, -v39
	v_mul_f16_e32 v41, 0xbb47, v41
	v_add_f16_e32 v8, v8, v25
	v_add_f16_e32 v11, v12, v11
	v_fma_f16 v12, v34, s12, -v35
	v_add_f16_e32 v79, v82, v79
	v_mul_f16_e32 v82, 0x3b47, v55
	v_add_f16_e32 v69, v6, v69
	v_fma_f16 v70, v40, s8, -v41
	v_mul_f16_e32 v52, 0xbbeb, v52
	v_add_f16_e32 v8, v8, v26
	v_add_f16_e32 v11, v12, v11
	v_fma_f16 v12, v36, s7, -v37
	v_fma_f16 v83, v54, s8, v82
	v_add_f16_e32 v72, v74, v72
	v_fma_f16 v74, v38, s7, -v78
	v_add_f16_e32 v69, v70, v69
	v_fma_f16 v70, v51, s6, -v52
	v_mul_f16_e32 v55, 0xba0c, v55
	v_add_f16_e32 v7, v7, v13
	v_add_f16_e32 v8, v8, v27
	;; [unrolled: 1-line block ×3, first 2 shown]
	v_fma_f16 v12, v38, s9, v39
	v_add_f16_e32 v79, v83, v79
	v_mul_f16_e32 v83, 0xbbeb, v58
	v_add_f16_e32 v74, v6, v74
	v_fma_f16 v75, v40, s9, -v80
	v_add_f16_e32 v69, v70, v69
	v_fma_f16 v70, v54, s12, -v55
	v_mul_f16_e32 v58, 0xb482, v58
	v_add_f16_e32 v7, v7, v14
	v_add_f16_e32 v8, v8, v20
	;; [unrolled: 1-line block ×3, first 2 shown]
	v_fma_f16 v12, v40, s8, v41
	v_add_f16_e32 v74, v75, v74
	v_fma_f16 v75, v51, s12, -v81
	v_add_f16_e32 v69, v70, v69
	v_fma_f16 v70, v57, s7, -v58
	v_add_f16_e32 v7, v7, v15
	v_add_f16_e32 v8, v8, v24
	;; [unrolled: 1-line block ×3, first 2 shown]
	v_fma_f16 v12, v51, s6, v52
	v_add_f16_e32 v74, v75, v74
	v_fma_f16 v75, v54, s8, -v82
	v_add_f16_e32 v69, v70, v69
	v_add_f16_e32 v7, v7, v22
	;; [unrolled: 1-line block ×4, first 2 shown]
	v_fma_f16 v12, v54, s12, v55
	v_add_f16_e32 v74, v75, v74
	v_fma_f16 v75, v57, s6, -v83
	v_add_f16_e32 v6, v12, v6
	v_fma_f16 v12, v57, s7, v58
	v_pack_b32_f16 v7, v7, v8
	v_pack_b32_f16 v8, v69, v68
	v_fma_f16 v84, v57, s6, v83
	v_add_f16_e32 v74, v75, v74
	v_add_f16_e32 v6, v12, v6
	ds_write2_b32 v0, v7, v8 offset1:170
	v_pack_b32_f16 v7, v59, v45
	v_pack_b32_f16 v8, v43, v42
	v_add_u32_e32 v12, 0x400, v0
	v_add_f16_e32 v79, v84, v79
	ds_write2_b32 v12, v7, v8 offset0:84 offset1:254
	v_pack_b32_f16 v7, v62, v60
	v_pack_b32_f16 v8, v74, v72
	v_add_u32_e32 v12, 0xa00, v0
	ds_write2_b32 v12, v7, v8 offset0:40 offset1:210
	v_pack_b32_f16 v7, v79, v73
	v_pack_b32_f16 v8, v67, v61
	v_add_u32_e32 v12, 0xf00, v0
	;; [unrolled: 4-line block ×3, first 2 shown]
	v_pack_b32_f16 v6, v6, v11
	ds_write2_b32 v9, v7, v8 offset0:80 offset1:250
	ds_write_b32 v0, v6 offset:6800
.LBB0_25:
	s_or_b64 exec, exec, s[4:5]
	s_waitcnt lgkmcnt(0)
	s_barrier
	s_and_saveexec_b64 s[4:5], s[0:1]
	s_cbranch_execz .LBB0_27
; %bb.26:
	v_mul_lo_u32 v0, s3, v3
	v_mul_lo_u32 v6, s2, v4
	v_mad_u64_u32 v[3:4], s[0:1], s2, v3, 0
	v_lshl_add_u32 v9, v5, 2, 0
	ds_read2_b32 v[7:8], v9 offset1:187
	v_add3_u32 v4, v4, v6, v0
	v_lshlrev_b64 v[3:4], 2, v[3:4]
	v_mov_b32_e32 v0, s11
	v_add_co_u32_e32 v3, vcc, s10, v3
	v_addc_co_u32_e32 v4, vcc, v0, v4, vcc
	v_lshlrev_b64 v[0:1], 2, v[1:2]
	v_mov_b32_e32 v6, 0
	v_add_co_u32_e32 v10, vcc, v3, v0
	v_addc_co_u32_e32 v4, vcc, v4, v1, vcc
	v_lshlrev_b64 v[0:1], 2, v[5:6]
	v_add_u32_e32 v2, 0x500, v9
	v_add_co_u32_e32 v0, vcc, v10, v0
	v_addc_co_u32_e32 v1, vcc, v4, v1, vcc
	s_waitcnt lgkmcnt(0)
	global_store_dword v[0:1], v7, off
	v_add_u32_e32 v0, 0xbb, v5
	v_mov_b32_e32 v1, v6
	v_lshlrev_b64 v[0:1], 2, v[0:1]
	ds_read2_b32 v[2:3], v2 offset0:54 offset1:241
	v_add_co_u32_e32 v0, vcc, v10, v0
	v_addc_co_u32_e32 v1, vcc, v4, v1, vcc
	global_store_dword v[0:1], v8, off
	v_add_u32_e32 v0, 0x176, v5
	v_mov_b32_e32 v1, v6
	v_lshlrev_b64 v[0:1], 2, v[0:1]
	v_add_co_u32_e32 v0, vcc, v10, v0
	v_addc_co_u32_e32 v1, vcc, v4, v1, vcc
	s_waitcnt lgkmcnt(0)
	global_store_dword v[0:1], v2, off
	v_add_u32_e32 v0, 0x231, v5
	v_mov_b32_e32 v1, v6
	v_lshlrev_b64 v[0:1], 2, v[0:1]
	v_add_u32_e32 v2, 0xb00, v9
	v_add_co_u32_e32 v0, vcc, v10, v0
	v_addc_co_u32_e32 v1, vcc, v4, v1, vcc
	global_store_dword v[0:1], v3, off
	v_add_u32_e32 v0, 0x2ec, v5
	v_mov_b32_e32 v1, v6
	ds_read2_b32 v[2:3], v2 offset0:44 offset1:231
	v_lshlrev_b64 v[0:1], 2, v[0:1]
	v_add_co_u32_e32 v0, vcc, v10, v0
	v_addc_co_u32_e32 v1, vcc, v4, v1, vcc
	s_waitcnt lgkmcnt(0)
	global_store_dword v[0:1], v2, off
	v_add_u32_e32 v0, 0x3a7, v5
	v_mov_b32_e32 v1, v6
	v_lshlrev_b64 v[0:1], 2, v[0:1]
	v_add_u32_e32 v2, 0x1100, v9
	v_add_co_u32_e32 v0, vcc, v10, v0
	v_addc_co_u32_e32 v1, vcc, v4, v1, vcc
	global_store_dword v[0:1], v3, off
	v_add_u32_e32 v0, 0x462, v5
	v_mov_b32_e32 v1, v6
	ds_read2_b32 v[2:3], v2 offset0:34 offset1:221
	v_lshlrev_b64 v[0:1], 2, v[0:1]
	v_add_co_u32_e32 v0, vcc, v10, v0
	v_addc_co_u32_e32 v1, vcc, v4, v1, vcc
	s_waitcnt lgkmcnt(0)
	global_store_dword v[0:1], v2, off
	v_add_u32_e32 v0, 0x51d, v5
	v_mov_b32_e32 v1, v6
	v_lshlrev_b64 v[0:1], 2, v[0:1]
	v_add_u32_e32 v2, 0x1700, v9
	v_add_co_u32_e32 v0, vcc, v10, v0
	v_addc_co_u32_e32 v1, vcc, v4, v1, vcc
	global_store_dword v[0:1], v3, off
	v_add_u32_e32 v0, 0x5d8, v5
	v_mov_b32_e32 v1, v6
	ds_read2_b32 v[2:3], v2 offset0:24 offset1:211
	v_lshlrev_b64 v[0:1], 2, v[0:1]
	v_add_u32_e32 v5, 0x693, v5
	v_add_co_u32_e32 v0, vcc, v10, v0
	v_addc_co_u32_e32 v1, vcc, v4, v1, vcc
	s_waitcnt lgkmcnt(0)
	global_store_dword v[0:1], v2, off
	v_lshlrev_b64 v[0:1], 2, v[5:6]
	v_add_co_u32_e32 v0, vcc, v10, v0
	v_addc_co_u32_e32 v1, vcc, v4, v1, vcc
	global_store_dword v[0:1], v3, off
.LBB0_27:
	s_endpgm
	.section	.rodata,"a",@progbits
	.p2align	6, 0x0
	.amdhsa_kernel fft_rtc_fwd_len1870_factors_17_10_11_wgs_187_tpt_187_halfLds_half_op_CI_CI_unitstride_sbrr_C2R_dirReg
		.amdhsa_group_segment_fixed_size 0
		.amdhsa_private_segment_fixed_size 0
		.amdhsa_kernarg_size 104
		.amdhsa_user_sgpr_count 6
		.amdhsa_user_sgpr_private_segment_buffer 1
		.amdhsa_user_sgpr_dispatch_ptr 0
		.amdhsa_user_sgpr_queue_ptr 0
		.amdhsa_user_sgpr_kernarg_segment_ptr 1
		.amdhsa_user_sgpr_dispatch_id 0
		.amdhsa_user_sgpr_flat_scratch_init 0
		.amdhsa_user_sgpr_private_segment_size 0
		.amdhsa_uses_dynamic_stack 0
		.amdhsa_system_sgpr_private_segment_wavefront_offset 0
		.amdhsa_system_sgpr_workgroup_id_x 1
		.amdhsa_system_sgpr_workgroup_id_y 0
		.amdhsa_system_sgpr_workgroup_id_z 0
		.amdhsa_system_sgpr_workgroup_info 0
		.amdhsa_system_vgpr_workitem_id 0
		.amdhsa_next_free_vgpr 150
		.amdhsa_next_free_sgpr 36
		.amdhsa_reserve_vcc 1
		.amdhsa_reserve_flat_scratch 0
		.amdhsa_float_round_mode_32 0
		.amdhsa_float_round_mode_16_64 0
		.amdhsa_float_denorm_mode_32 3
		.amdhsa_float_denorm_mode_16_64 3
		.amdhsa_dx10_clamp 1
		.amdhsa_ieee_mode 1
		.amdhsa_fp16_overflow 0
		.amdhsa_exception_fp_ieee_invalid_op 0
		.amdhsa_exception_fp_denorm_src 0
		.amdhsa_exception_fp_ieee_div_zero 0
		.amdhsa_exception_fp_ieee_overflow 0
		.amdhsa_exception_fp_ieee_underflow 0
		.amdhsa_exception_fp_ieee_inexact 0
		.amdhsa_exception_int_div_zero 0
	.end_amdhsa_kernel
	.text
.Lfunc_end0:
	.size	fft_rtc_fwd_len1870_factors_17_10_11_wgs_187_tpt_187_halfLds_half_op_CI_CI_unitstride_sbrr_C2R_dirReg, .Lfunc_end0-fft_rtc_fwd_len1870_factors_17_10_11_wgs_187_tpt_187_halfLds_half_op_CI_CI_unitstride_sbrr_C2R_dirReg
                                        ; -- End function
	.section	.AMDGPU.csdata,"",@progbits
; Kernel info:
; codeLenInByte = 11980
; NumSgprs: 40
; NumVgprs: 150
; ScratchSize: 0
; MemoryBound: 0
; FloatMode: 240
; IeeeMode: 1
; LDSByteSize: 0 bytes/workgroup (compile time only)
; SGPRBlocks: 4
; VGPRBlocks: 37
; NumSGPRsForWavesPerEU: 40
; NumVGPRsForWavesPerEU: 150
; Occupancy: 1
; WaveLimiterHint : 1
; COMPUTE_PGM_RSRC2:SCRATCH_EN: 0
; COMPUTE_PGM_RSRC2:USER_SGPR: 6
; COMPUTE_PGM_RSRC2:TRAP_HANDLER: 0
; COMPUTE_PGM_RSRC2:TGID_X_EN: 1
; COMPUTE_PGM_RSRC2:TGID_Y_EN: 0
; COMPUTE_PGM_RSRC2:TGID_Z_EN: 0
; COMPUTE_PGM_RSRC2:TIDIG_COMP_CNT: 0
	.type	__hip_cuid_6979457cbb78a917,@object ; @__hip_cuid_6979457cbb78a917
	.section	.bss,"aw",@nobits
	.globl	__hip_cuid_6979457cbb78a917
__hip_cuid_6979457cbb78a917:
	.byte	0                               ; 0x0
	.size	__hip_cuid_6979457cbb78a917, 1

	.ident	"AMD clang version 19.0.0git (https://github.com/RadeonOpenCompute/llvm-project roc-6.4.0 25133 c7fe45cf4b819c5991fe208aaa96edf142730f1d)"
	.section	".note.GNU-stack","",@progbits
	.addrsig
	.addrsig_sym __hip_cuid_6979457cbb78a917
	.amdgpu_metadata
---
amdhsa.kernels:
  - .args:
      - .actual_access:  read_only
        .address_space:  global
        .offset:         0
        .size:           8
        .value_kind:     global_buffer
      - .offset:         8
        .size:           8
        .value_kind:     by_value
      - .actual_access:  read_only
        .address_space:  global
        .offset:         16
        .size:           8
        .value_kind:     global_buffer
      - .actual_access:  read_only
        .address_space:  global
        .offset:         24
        .size:           8
        .value_kind:     global_buffer
      - .actual_access:  read_only
        .address_space:  global
        .offset:         32
        .size:           8
        .value_kind:     global_buffer
      - .offset:         40
        .size:           8
        .value_kind:     by_value
      - .actual_access:  read_only
        .address_space:  global
        .offset:         48
        .size:           8
        .value_kind:     global_buffer
      - .actual_access:  read_only
        .address_space:  global
        .offset:         56
        .size:           8
        .value_kind:     global_buffer
      - .offset:         64
        .size:           4
        .value_kind:     by_value
      - .actual_access:  read_only
        .address_space:  global
        .offset:         72
        .size:           8
        .value_kind:     global_buffer
      - .actual_access:  read_only
        .address_space:  global
        .offset:         80
        .size:           8
        .value_kind:     global_buffer
      - .actual_access:  read_only
        .address_space:  global
        .offset:         88
        .size:           8
        .value_kind:     global_buffer
      - .actual_access:  write_only
        .address_space:  global
        .offset:         96
        .size:           8
        .value_kind:     global_buffer
    .group_segment_fixed_size: 0
    .kernarg_segment_align: 8
    .kernarg_segment_size: 104
    .language:       OpenCL C
    .language_version:
      - 2
      - 0
    .max_flat_workgroup_size: 187
    .name:           fft_rtc_fwd_len1870_factors_17_10_11_wgs_187_tpt_187_halfLds_half_op_CI_CI_unitstride_sbrr_C2R_dirReg
    .private_segment_fixed_size: 0
    .sgpr_count:     40
    .sgpr_spill_count: 0
    .symbol:         fft_rtc_fwd_len1870_factors_17_10_11_wgs_187_tpt_187_halfLds_half_op_CI_CI_unitstride_sbrr_C2R_dirReg.kd
    .uniform_work_group_size: 1
    .uses_dynamic_stack: false
    .vgpr_count:     150
    .vgpr_spill_count: 0
    .wavefront_size: 64
amdhsa.target:   amdgcn-amd-amdhsa--gfx906
amdhsa.version:
  - 1
  - 2
...

	.end_amdgpu_metadata
